;; amdgpu-corpus repo=ROCm/rocFFT kind=compiled arch=gfx1100 opt=O3
	.text
	.amdgcn_target "amdgcn-amd-amdhsa--gfx1100"
	.amdhsa_code_object_version 6
	.protected	fft_rtc_back_len546_factors_13_3_7_2_wgs_117_tpt_39_halfLds_sp_ip_CI_sbrr_dirReg ; -- Begin function fft_rtc_back_len546_factors_13_3_7_2_wgs_117_tpt_39_halfLds_sp_ip_CI_sbrr_dirReg
	.globl	fft_rtc_back_len546_factors_13_3_7_2_wgs_117_tpt_39_halfLds_sp_ip_CI_sbrr_dirReg
	.p2align	8
	.type	fft_rtc_back_len546_factors_13_3_7_2_wgs_117_tpt_39_halfLds_sp_ip_CI_sbrr_dirReg,@function
fft_rtc_back_len546_factors_13_3_7_2_wgs_117_tpt_39_halfLds_sp_ip_CI_sbrr_dirReg: ; @fft_rtc_back_len546_factors_13_3_7_2_wgs_117_tpt_39_halfLds_sp_ip_CI_sbrr_dirReg
; %bb.0:
	s_clause 0x1
	s_load_b64 s[12:13], s[0:1], 0x18
	s_load_b128 s[4:7], s[0:1], 0x0
	v_mul_u32_u24_e32 v1, 0x691, v0
	v_mov_b32_e32 v3, 0
	s_load_b64 s[10:11], s[0:1], 0x50
	s_waitcnt lgkmcnt(0)
	s_load_b64 s[8:9], s[12:13], 0x0
	v_lshrrev_b32_e32 v4, 16, v1
	v_cmp_lt_u64_e64 s2, s[6:7], 2
	s_delay_alu instid0(VALU_DEP_2) | instskip(SKIP_4) | instid1(VALU_DEP_1)
	v_mad_u64_u32 v[1:2], null, s15, 3, v[4:5]
	v_mov_b32_e32 v5, 0
	v_mov_b32_e32 v6, 0
	;; [unrolled: 1-line block ×3, first 2 shown]
	s_and_b32 vcc_lo, exec_lo, s2
	v_dual_mov_b32 v10, v2 :: v_dual_mov_b32 v9, v1
	s_cbranch_vccnz .LBB0_8
; %bb.1:
	s_load_b64 s[2:3], s[0:1], 0x10
	v_dual_mov_b32 v5, 0 :: v_dual_mov_b32 v8, v2
	s_add_u32 s14, s12, 8
	v_dual_mov_b32 v6, 0 :: v_dual_mov_b32 v7, v1
	s_addc_u32 s15, s13, 0
	s_mov_b64 s[18:19], 1
	s_waitcnt lgkmcnt(0)
	s_add_u32 s16, s2, 8
	s_addc_u32 s17, s3, 0
.LBB0_2:                                ; =>This Inner Loop Header: Depth=1
	s_load_b64 s[20:21], s[16:17], 0x0
                                        ; implicit-def: $vgpr9_vgpr10
	s_mov_b32 s2, exec_lo
	s_waitcnt lgkmcnt(0)
	v_or_b32_e32 v4, s21, v8
	s_delay_alu instid0(VALU_DEP_1)
	v_cmpx_ne_u64_e32 0, v[3:4]
	s_xor_b32 s3, exec_lo, s2
	s_cbranch_execz .LBB0_4
; %bb.3:                                ;   in Loop: Header=BB0_2 Depth=1
	v_cvt_f32_u32_e32 v2, s20
	v_cvt_f32_u32_e32 v4, s21
	s_sub_u32 s2, 0, s20
	s_subb_u32 s22, 0, s21
	s_delay_alu instid0(VALU_DEP_1) | instskip(NEXT) | instid1(VALU_DEP_1)
	v_fmac_f32_e32 v2, 0x4f800000, v4
	v_rcp_f32_e32 v2, v2
	s_waitcnt_depctr 0xfff
	v_mul_f32_e32 v2, 0x5f7ffffc, v2
	s_delay_alu instid0(VALU_DEP_1) | instskip(NEXT) | instid1(VALU_DEP_1)
	v_mul_f32_e32 v4, 0x2f800000, v2
	v_trunc_f32_e32 v4, v4
	s_delay_alu instid0(VALU_DEP_1) | instskip(SKIP_1) | instid1(VALU_DEP_2)
	v_fmac_f32_e32 v2, 0xcf800000, v4
	v_cvt_u32_f32_e32 v4, v4
	v_cvt_u32_f32_e32 v2, v2
	s_delay_alu instid0(VALU_DEP_2) | instskip(NEXT) | instid1(VALU_DEP_2)
	v_mul_lo_u32 v9, s2, v4
	v_mul_hi_u32 v10, s2, v2
	v_mul_lo_u32 v11, s22, v2
	s_delay_alu instid0(VALU_DEP_2) | instskip(SKIP_1) | instid1(VALU_DEP_2)
	v_add_nc_u32_e32 v9, v10, v9
	v_mul_lo_u32 v10, s2, v2
	v_add_nc_u32_e32 v9, v9, v11
	s_delay_alu instid0(VALU_DEP_2) | instskip(NEXT) | instid1(VALU_DEP_2)
	v_mul_hi_u32 v11, v2, v10
	v_mul_lo_u32 v12, v2, v9
	v_mul_hi_u32 v13, v2, v9
	v_mul_hi_u32 v14, v4, v10
	v_mul_lo_u32 v10, v4, v10
	v_mul_hi_u32 v15, v4, v9
	v_mul_lo_u32 v9, v4, v9
	v_add_co_u32 v11, vcc_lo, v11, v12
	v_add_co_ci_u32_e32 v12, vcc_lo, 0, v13, vcc_lo
	s_delay_alu instid0(VALU_DEP_2) | instskip(NEXT) | instid1(VALU_DEP_2)
	v_add_co_u32 v10, vcc_lo, v11, v10
	v_add_co_ci_u32_e32 v10, vcc_lo, v12, v14, vcc_lo
	v_add_co_ci_u32_e32 v11, vcc_lo, 0, v15, vcc_lo
	s_delay_alu instid0(VALU_DEP_2) | instskip(NEXT) | instid1(VALU_DEP_2)
	v_add_co_u32 v9, vcc_lo, v10, v9
	v_add_co_ci_u32_e32 v10, vcc_lo, 0, v11, vcc_lo
	s_delay_alu instid0(VALU_DEP_2) | instskip(NEXT) | instid1(VALU_DEP_2)
	v_add_co_u32 v2, vcc_lo, v2, v9
	v_add_co_ci_u32_e32 v4, vcc_lo, v4, v10, vcc_lo
	s_delay_alu instid0(VALU_DEP_2) | instskip(SKIP_1) | instid1(VALU_DEP_3)
	v_mul_hi_u32 v9, s2, v2
	v_mul_lo_u32 v11, s22, v2
	v_mul_lo_u32 v10, s2, v4
	s_delay_alu instid0(VALU_DEP_1) | instskip(SKIP_1) | instid1(VALU_DEP_2)
	v_add_nc_u32_e32 v9, v9, v10
	v_mul_lo_u32 v10, s2, v2
	v_add_nc_u32_e32 v9, v9, v11
	s_delay_alu instid0(VALU_DEP_2) | instskip(NEXT) | instid1(VALU_DEP_2)
	v_mul_hi_u32 v11, v2, v10
	v_mul_lo_u32 v12, v2, v9
	v_mul_hi_u32 v13, v2, v9
	v_mul_hi_u32 v14, v4, v10
	v_mul_lo_u32 v10, v4, v10
	v_mul_hi_u32 v15, v4, v9
	v_mul_lo_u32 v9, v4, v9
	v_add_co_u32 v11, vcc_lo, v11, v12
	v_add_co_ci_u32_e32 v12, vcc_lo, 0, v13, vcc_lo
	s_delay_alu instid0(VALU_DEP_2) | instskip(NEXT) | instid1(VALU_DEP_2)
	v_add_co_u32 v10, vcc_lo, v11, v10
	v_add_co_ci_u32_e32 v10, vcc_lo, v12, v14, vcc_lo
	v_add_co_ci_u32_e32 v11, vcc_lo, 0, v15, vcc_lo
	s_delay_alu instid0(VALU_DEP_2) | instskip(NEXT) | instid1(VALU_DEP_2)
	v_add_co_u32 v9, vcc_lo, v10, v9
	v_add_co_ci_u32_e32 v10, vcc_lo, 0, v11, vcc_lo
	s_delay_alu instid0(VALU_DEP_2) | instskip(NEXT) | instid1(VALU_DEP_2)
	v_add_co_u32 v2, vcc_lo, v2, v9
	v_add_co_ci_u32_e32 v4, vcc_lo, v4, v10, vcc_lo
	s_delay_alu instid0(VALU_DEP_2) | instskip(SKIP_1) | instid1(VALU_DEP_3)
	v_mul_hi_u32 v15, v7, v2
	v_mad_u64_u32 v[11:12], null, v8, v2, 0
	v_mad_u64_u32 v[9:10], null, v7, v4, 0
	v_mad_u64_u32 v[13:14], null, v8, v4, 0
	s_delay_alu instid0(VALU_DEP_2) | instskip(NEXT) | instid1(VALU_DEP_3)
	v_add_co_u32 v2, vcc_lo, v15, v9
	v_add_co_ci_u32_e32 v4, vcc_lo, 0, v10, vcc_lo
	s_delay_alu instid0(VALU_DEP_2) | instskip(NEXT) | instid1(VALU_DEP_2)
	v_add_co_u32 v2, vcc_lo, v2, v11
	v_add_co_ci_u32_e32 v2, vcc_lo, v4, v12, vcc_lo
	v_add_co_ci_u32_e32 v4, vcc_lo, 0, v14, vcc_lo
	s_delay_alu instid0(VALU_DEP_2) | instskip(NEXT) | instid1(VALU_DEP_2)
	v_add_co_u32 v2, vcc_lo, v2, v13
	v_add_co_ci_u32_e32 v4, vcc_lo, 0, v4, vcc_lo
	s_delay_alu instid0(VALU_DEP_2) | instskip(SKIP_1) | instid1(VALU_DEP_3)
	v_mul_lo_u32 v11, s21, v2
	v_mad_u64_u32 v[9:10], null, s20, v2, 0
	v_mul_lo_u32 v12, s20, v4
	s_delay_alu instid0(VALU_DEP_2) | instskip(NEXT) | instid1(VALU_DEP_2)
	v_sub_co_u32 v9, vcc_lo, v7, v9
	v_add3_u32 v10, v10, v12, v11
	s_delay_alu instid0(VALU_DEP_1) | instskip(NEXT) | instid1(VALU_DEP_1)
	v_sub_nc_u32_e32 v11, v8, v10
	v_subrev_co_ci_u32_e64 v11, s2, s21, v11, vcc_lo
	v_add_co_u32 v12, s2, v2, 2
	s_delay_alu instid0(VALU_DEP_1) | instskip(SKIP_3) | instid1(VALU_DEP_3)
	v_add_co_ci_u32_e64 v13, s2, 0, v4, s2
	v_sub_co_u32 v14, s2, v9, s20
	v_sub_co_ci_u32_e32 v10, vcc_lo, v8, v10, vcc_lo
	v_subrev_co_ci_u32_e64 v11, s2, 0, v11, s2
	v_cmp_le_u32_e32 vcc_lo, s20, v14
	s_delay_alu instid0(VALU_DEP_3) | instskip(SKIP_1) | instid1(VALU_DEP_4)
	v_cmp_eq_u32_e64 s2, s21, v10
	v_cndmask_b32_e64 v14, 0, -1, vcc_lo
	v_cmp_le_u32_e32 vcc_lo, s21, v11
	v_cndmask_b32_e64 v15, 0, -1, vcc_lo
	v_cmp_le_u32_e32 vcc_lo, s20, v9
	;; [unrolled: 2-line block ×3, first 2 shown]
	v_cndmask_b32_e64 v16, 0, -1, vcc_lo
	v_cmp_eq_u32_e32 vcc_lo, s21, v11
	s_delay_alu instid0(VALU_DEP_2) | instskip(SKIP_3) | instid1(VALU_DEP_3)
	v_cndmask_b32_e64 v9, v16, v9, s2
	v_cndmask_b32_e32 v11, v15, v14, vcc_lo
	v_add_co_u32 v14, vcc_lo, v2, 1
	v_add_co_ci_u32_e32 v15, vcc_lo, 0, v4, vcc_lo
	v_cmp_ne_u32_e32 vcc_lo, 0, v11
	s_delay_alu instid0(VALU_DEP_2) | instskip(SKIP_1) | instid1(VALU_DEP_2)
	v_dual_cndmask_b32 v10, v15, v13 :: v_dual_cndmask_b32 v11, v14, v12
	v_cmp_ne_u32_e32 vcc_lo, 0, v9
	v_dual_cndmask_b32 v10, v4, v10 :: v_dual_cndmask_b32 v9, v2, v11
.LBB0_4:                                ;   in Loop: Header=BB0_2 Depth=1
	s_and_not1_saveexec_b32 s2, s3
	s_cbranch_execz .LBB0_6
; %bb.5:                                ;   in Loop: Header=BB0_2 Depth=1
	v_cvt_f32_u32_e32 v2, s20
	s_sub_i32 s3, 0, s20
	s_delay_alu instid0(VALU_DEP_1) | instskip(SKIP_2) | instid1(VALU_DEP_1)
	v_rcp_iflag_f32_e32 v2, v2
	s_waitcnt_depctr 0xfff
	v_mul_f32_e32 v2, 0x4f7ffffe, v2
	v_cvt_u32_f32_e32 v2, v2
	s_delay_alu instid0(VALU_DEP_1) | instskip(NEXT) | instid1(VALU_DEP_1)
	v_mul_lo_u32 v4, s3, v2
	v_mul_hi_u32 v4, v2, v4
	s_delay_alu instid0(VALU_DEP_1) | instskip(NEXT) | instid1(VALU_DEP_1)
	v_add_nc_u32_e32 v2, v2, v4
	v_mul_hi_u32 v2, v7, v2
	s_delay_alu instid0(VALU_DEP_1) | instskip(SKIP_1) | instid1(VALU_DEP_2)
	v_mul_lo_u32 v4, v2, s20
	v_add_nc_u32_e32 v9, 1, v2
	v_sub_nc_u32_e32 v4, v7, v4
	s_delay_alu instid0(VALU_DEP_1) | instskip(SKIP_1) | instid1(VALU_DEP_2)
	v_subrev_nc_u32_e32 v10, s20, v4
	v_cmp_le_u32_e32 vcc_lo, s20, v4
	v_cndmask_b32_e32 v4, v4, v10, vcc_lo
	v_mov_b32_e32 v10, v3
	v_cndmask_b32_e32 v2, v2, v9, vcc_lo
	s_delay_alu instid0(VALU_DEP_3) | instskip(NEXT) | instid1(VALU_DEP_2)
	v_cmp_le_u32_e32 vcc_lo, s20, v4
	v_add_nc_u32_e32 v9, 1, v2
	s_delay_alu instid0(VALU_DEP_1)
	v_cndmask_b32_e32 v9, v2, v9, vcc_lo
.LBB0_6:                                ;   in Loop: Header=BB0_2 Depth=1
	s_or_b32 exec_lo, exec_lo, s2
	s_load_b64 s[2:3], s[14:15], 0x0
	v_mul_lo_u32 v2, v10, s20
	s_delay_alu instid0(VALU_DEP_2)
	v_mul_lo_u32 v4, v9, s21
	v_mad_u64_u32 v[11:12], null, v9, s20, 0
	s_add_u32 s18, s18, 1
	s_addc_u32 s19, s19, 0
	s_add_u32 s14, s14, 8
	s_addc_u32 s15, s15, 0
	;; [unrolled: 2-line block ×3, first 2 shown]
	s_delay_alu instid0(VALU_DEP_1) | instskip(SKIP_1) | instid1(VALU_DEP_2)
	v_add3_u32 v2, v12, v4, v2
	v_sub_co_u32 v4, vcc_lo, v7, v11
	v_sub_co_ci_u32_e32 v2, vcc_lo, v8, v2, vcc_lo
	s_waitcnt lgkmcnt(0)
	s_delay_alu instid0(VALU_DEP_2) | instskip(NEXT) | instid1(VALU_DEP_2)
	v_mul_lo_u32 v11, s3, v4
	v_mul_lo_u32 v2, s2, v2
	v_mad_u64_u32 v[7:8], null, s2, v4, v[5:6]
	v_cmp_ge_u64_e64 s2, s[18:19], s[6:7]
	s_delay_alu instid0(VALU_DEP_1) | instskip(NEXT) | instid1(VALU_DEP_2)
	s_and_b32 vcc_lo, exec_lo, s2
	v_add3_u32 v6, v11, v8, v2
	s_delay_alu instid0(VALU_DEP_3)
	v_mov_b32_e32 v5, v7
	s_cbranch_vccnz .LBB0_8
; %bb.7:                                ;   in Loop: Header=BB0_2 Depth=1
	v_dual_mov_b32 v7, v9 :: v_dual_mov_b32 v8, v10
	s_branch .LBB0_2
.LBB0_8:
	s_lshl_b64 s[2:3], s[6:7], 3
	v_mul_hi_u32 v4, 0x6906907, v0
	s_add_u32 s2, s12, s2
	s_addc_u32 s3, s13, s3
                                        ; implicit-def: $vgpr21
                                        ; implicit-def: $vgpr47
                                        ; implicit-def: $vgpr29
                                        ; implicit-def: $vgpr15
                                        ; implicit-def: $vgpr17
                                        ; implicit-def: $vgpr11
                                        ; implicit-def: $vgpr13
                                        ; implicit-def: $vgpr27
                                        ; implicit-def: $vgpr41
                                        ; implicit-def: $vgpr57
                                        ; implicit-def: $vgpr55
                                        ; implicit-def: $vgpr25
                                        ; implicit-def: $vgpr23
                                        ; implicit-def: $vgpr19
                                        ; implicit-def: $vgpr39
                                        ; implicit-def: $vgpr37
                                        ; implicit-def: $vgpr31
                                        ; implicit-def: $vgpr43
                                        ; implicit-def: $vgpr45
                                        ; implicit-def: $vgpr49
                                        ; implicit-def: $vgpr53
                                        ; implicit-def: $vgpr51
                                        ; implicit-def: $vgpr35
	s_load_b64 s[2:3], s[2:3], 0x0
	s_load_b64 s[0:1], s[0:1], 0x20
	s_delay_alu instid0(VALU_DEP_1) | instskip(NEXT) | instid1(VALU_DEP_1)
	v_mul_u32_u24_e32 v4, 39, v4
	v_sub_nc_u32_e32 v0, v0, v4
	v_mov_b32_e32 v4, 0
	s_waitcnt lgkmcnt(0)
	v_mul_lo_u32 v7, s2, v10
	v_mul_lo_u32 v8, s3, v9
	v_mad_u64_u32 v[2:3], null, s2, v9, v[5:6]
	v_cmp_gt_u64_e32 vcc_lo, s[0:1], v[9:10]
	v_mov_b32_e32 v5, 0
                                        ; implicit-def: $vgpr9
	s_delay_alu instid0(VALU_DEP_3) | instskip(NEXT) | instid1(VALU_DEP_1)
	v_add3_u32 v3, v8, v3, v7
                                        ; implicit-def: $vgpr7
	v_lshlrev_b64 v[2:3], 3, v[2:3]
	s_and_saveexec_b32 s1, vcc_lo
	s_cbranch_execz .LBB0_12
; %bb.9:
	v_add_nc_u32_e32 v15, 42, v0
	v_mad_u64_u32 v[4:5], null, s8, v0, 0
	s_delay_alu instid0(VALU_DEP_3) | instskip(NEXT) | instid1(VALU_DEP_3)
	v_add_co_u32 v32, s0, s10, v2
	v_mad_u64_u32 v[6:7], null, s8, v15, 0
	v_add_co_ci_u32_e64 v33, s0, s11, v3, s0
	s_mov_b32 s2, exec_lo
                                        ; implicit-def: $vgpr50
                                        ; implicit-def: $vgpr52
                                        ; implicit-def: $vgpr48
                                        ; implicit-def: $vgpr44
                                        ; implicit-def: $vgpr42
	v_add_nc_u32_e32 v20, 0xd2, v0
	v_add_nc_u32_e32 v24, 0xfc, v0
	;; [unrolled: 1-line block ×3, first 2 shown]
	v_mad_u64_u32 v[12:13], null, s9, v0, v[5:6]
	v_add_nc_u32_e32 v16, 0x54, v0
	v_mad_u64_u32 v[18:19], null, s8, v20, 0
	v_add_nc_u32_e32 v17, 0x7e, v0
	v_mad_u64_u32 v[22:23], null, s8, v24, 0
	v_mov_b32_e32 v5, v12
	v_mad_u64_u32 v[8:9], null, s8, v16, 0
	s_delay_alu instid0(VALU_DEP_4) | instskip(NEXT) | instid1(VALU_DEP_3)
	v_mad_u64_u32 v[10:11], null, s8, v17, 0
	v_lshlrev_b64 v[4:5], 3, v[4:5]
	s_delay_alu instid0(VALU_DEP_3) | instskip(SKIP_1) | instid1(VALU_DEP_3)
	v_mad_u64_u32 v[13:14], null, s9, v15, v[7:8]
	v_add_nc_u32_e32 v15, 0xa8, v0
	v_add_co_u32 v4, s0, v32, v4
	s_delay_alu instid0(VALU_DEP_1) | instskip(NEXT) | instid1(VALU_DEP_4)
	v_add_co_ci_u32_e64 v5, s0, v33, v5, s0
	v_mov_b32_e32 v7, v13
	v_mad_u64_u32 v[12:13], null, s9, v16, v[9:10]
	s_delay_alu instid0(VALU_DEP_2) | instskip(NEXT) | instid1(VALU_DEP_2)
	v_lshlrev_b64 v[6:7], 3, v[6:7]
	v_mov_b32_e32 v9, v12
	v_mad_u64_u32 v[13:14], null, s9, v17, v[11:12]
	v_mad_u64_u32 v[16:17], null, s8, v15, 0
	s_delay_alu instid0(VALU_DEP_3) | instskip(SKIP_1) | instid1(VALU_DEP_1)
	v_lshlrev_b64 v[8:9], 3, v[8:9]
	v_add_co_u32 v6, s0, v32, v6
	v_add_co_ci_u32_e64 v7, s0, v33, v7, s0
	v_mov_b32_e32 v11, v13
	v_mov_b32_e32 v12, v17
	v_add_co_u32 v8, s0, v32, v8
	s_delay_alu instid0(VALU_DEP_1) | instskip(NEXT) | instid1(VALU_DEP_3)
	v_add_co_ci_u32_e64 v9, s0, v33, v9, s0
	v_mad_u64_u32 v[13:14], null, s9, v15, v[12:13]
	s_delay_alu instid0(VALU_DEP_1) | instskip(NEXT) | instid1(VALU_DEP_1)
	v_dual_mov_b32 v12, v19 :: v_dual_mov_b32 v17, v13
	v_mad_u64_u32 v[13:14], null, s9, v20, v[12:13]
	v_add_nc_u32_e32 v12, 0x126, v0
	v_lshlrev_b64 v[10:11], 3, v[10:11]
	s_delay_alu instid0(VALU_DEP_3) | instskip(NEXT) | instid1(VALU_DEP_2)
	v_mov_b32_e32 v19, v13
	v_add_co_u32 v10, s0, v32, v10
	s_delay_alu instid0(VALU_DEP_1)
	v_add_co_ci_u32_e64 v11, s0, v33, v11, s0
	s_clause 0x3
	global_load_b64 v[20:21], v[4:5], off
	global_load_b64 v[46:47], v[6:7], off
	global_load_b64 v[28:29], v[8:9], off
	global_load_b64 v[14:15], v[10:11], off
	v_mad_u64_u32 v[7:8], null, s8, v12, 0
	v_mov_b32_e32 v6, v23
	s_delay_alu instid0(VALU_DEP_1) | instskip(SKIP_1) | instid1(VALU_DEP_4)
	v_mad_u64_u32 v[9:10], null, s9, v24, v[6:7]
	v_add_nc_u32_e32 v24, 0x150, v0
	v_mov_b32_e32 v6, v8
	v_lshlrev_b64 v[4:5], 3, v[16:17]
	v_lshlrev_b64 v[10:11], 3, v[18:19]
	v_mov_b32_e32 v23, v9
	s_delay_alu instid0(VALU_DEP_4) | instskip(NEXT) | instid1(VALU_DEP_4)
	v_mad_u64_u32 v[8:9], null, s9, v12, v[6:7]
	v_add_co_u32 v4, s0, v32, v4
	s_delay_alu instid0(VALU_DEP_1) | instskip(SKIP_2) | instid1(VALU_DEP_1)
	v_add_co_ci_u32_e64 v5, s0, v33, v5, s0
	v_mad_u64_u32 v[12:13], null, s8, v24, 0
	v_add_co_u32 v9, s0, v32, v10
	v_add_co_ci_u32_e64 v10, s0, v33, v11, s0
	v_add_nc_u32_e32 v11, 0x17a, v0
	v_lshlrev_b64 v[16:17], 3, v[22:23]
	v_mov_b32_e32 v6, v13
	v_lshlrev_b64 v[7:8], 3, v[7:8]
	s_delay_alu instid0(VALU_DEP_4) | instskip(NEXT) | instid1(VALU_DEP_4)
	v_mad_u64_u32 v[18:19], null, s8, v11, 0
	v_add_co_u32 v22, s0, v32, v16
	s_delay_alu instid0(VALU_DEP_1) | instskip(NEXT) | instid1(VALU_DEP_4)
	v_add_co_ci_u32_e64 v23, s0, v33, v17, s0
	v_mad_u64_u32 v[16:17], null, s9, v24, v[6:7]
	v_mad_u64_u32 v[24:25], null, s8, v38, 0
	v_add_nc_u32_e32 v39, 0x1ce, v0
	v_add_co_u32 v26, s0, v32, v7
	s_delay_alu instid0(VALU_DEP_4) | instskip(SKIP_1) | instid1(VALU_DEP_2)
	v_dual_mov_b32 v6, v19 :: v_dual_mov_b32 v13, v16
	v_add_co_ci_u32_e64 v27, s0, v33, v8, s0
	v_mad_u64_u32 v[30:31], null, s9, v11, v[6:7]
	v_mov_b32_e32 v6, v25
	v_mad_u64_u32 v[34:35], null, s8, v39, 0
	v_add_nc_u32_e32 v31, 0x1f8, v0
	v_lshlrev_b64 v[12:13], 3, v[12:13]
	s_delay_alu instid0(VALU_DEP_4)
	v_mad_u64_u32 v[36:37], null, s9, v38, v[6:7]
	s_clause 0x3
	global_load_b64 v[16:17], v[4:5], off
	global_load_b64 v[10:11], v[9:10], off
	;; [unrolled: 1-line block ×4, first 2 shown]
	v_dual_mov_b32 v19, v30 :: v_dual_mov_b32 v4, v35
	v_mad_u64_u32 v[37:38], null, s8, v31, 0
                                        ; implicit-def: $vgpr30
	v_add_co_u32 v12, s0, v32, v12
	v_mov_b32_e32 v25, v36
	s_delay_alu instid0(VALU_DEP_4) | instskip(SKIP_3) | instid1(VALU_DEP_3)
	v_mad_u64_u32 v[22:23], null, s9, v39, v[4:5]
	v_lshlrev_b64 v[18:19], 3, v[18:19]
	v_mov_b32_e32 v4, v38
	v_add_co_ci_u32_e64 v13, s0, v33, v13, s0
                                        ; implicit-def: $vgpr36
	v_add_co_u32 v18, s0, v32, v18
	s_delay_alu instid0(VALU_DEP_3) | instskip(SKIP_3) | instid1(VALU_DEP_3)
	v_mad_u64_u32 v[26:27], null, s9, v31, v[4:5]
	v_mov_b32_e32 v35, v22
	v_lshlrev_b64 v[4:5], 3, v[24:25]
	v_add_co_ci_u32_e64 v19, s0, v33, v19, s0
	v_lshlrev_b64 v[22:23], 3, v[34:35]
	v_mov_b32_e32 v38, v26
	s_delay_alu instid0(VALU_DEP_4) | instskip(NEXT) | instid1(VALU_DEP_1)
	v_add_co_u32 v4, s0, v32, v4
	v_add_co_ci_u32_e64 v5, s0, v33, v5, s0
	s_delay_alu instid0(VALU_DEP_3) | instskip(SKIP_1) | instid1(VALU_DEP_1)
	v_lshlrev_b64 v[24:25], 3, v[37:38]
	v_add_co_u32 v22, s0, v32, v22
	v_add_co_ci_u32_e64 v23, s0, v33, v23, s0
                                        ; implicit-def: $vgpr34
                                        ; implicit-def: $vgpr38
	s_delay_alu instid0(VALU_DEP_3) | instskip(NEXT) | instid1(VALU_DEP_1)
	v_add_co_u32 v24, s0, v32, v24
	v_add_co_ci_u32_e64 v25, s0, v33, v25, s0
	s_clause 0x4
	global_load_b64 v[12:13], v[12:13], off
	global_load_b64 v[26:27], v[18:19], off
	;; [unrolled: 1-line block ×5, first 2 shown]
	v_dual_mov_b32 v5, 0 :: v_dual_mov_b32 v4, 0
                                        ; implicit-def: $vgpr18
                                        ; implicit-def: $vgpr22
                                        ; implicit-def: $vgpr24
	v_cmpx_gt_u32_e32 3, v0
	s_cbranch_execz .LBB0_11
; %bb.10:
	v_add_nc_u32_e32 v37, 0x7b, v0
	v_add_nc_u32_e32 v45, 0x123, v0
	;; [unrolled: 1-line block ×5, first 2 shown]
	v_mad_u64_u32 v[22:23], null, s8, v37, 0
	v_add_nc_u32_e32 v34, 39, v0
	v_add_nc_u32_e32 v50, 0x177, v0
	;; [unrolled: 1-line block ×3, first 2 shown]
	s_delay_alu instid0(VALU_DEP_3) | instskip(NEXT) | instid1(VALU_DEP_2)
	v_mad_u64_u32 v[4:5], null, s8, v34, 0
	v_mad_u64_u32 v[48:49], null, s8, v60, 0
	s_waitcnt vmcnt(6)
	s_delay_alu instid0(VALU_DEP_2) | instskip(SKIP_1) | instid1(VALU_DEP_1)
	v_mad_u64_u32 v[30:31], null, s9, v34, v[5:6]
	v_dual_mov_b32 v5, v23 :: v_dual_add_nc_u32 v38, 0xa5, v0
	v_mad_u64_u32 v[24:25], null, s8, v38, 0
	s_delay_alu instid0(VALU_DEP_1) | instskip(NEXT) | instid1(VALU_DEP_1)
	v_dual_mov_b32 v23, v25 :: v_dual_add_nc_u32 v36, 0x51, v0
	v_mad_u64_u32 v[18:19], null, s8, v36, 0
	s_delay_alu instid0(VALU_DEP_1)
	v_mad_u64_u32 v[34:35], null, s9, v36, v[19:20]
	v_mad_u64_u32 v[35:36], null, s9, v37, v[5:6]
	v_mov_b32_e32 v5, v30
	v_mad_u64_u32 v[30:31], null, s9, v38, v[23:24]
	v_add_nc_u32_e32 v31, 0xcf, v0
	v_mov_b32_e32 v19, v34
	s_delay_alu instid0(VALU_DEP_4) | instskip(SKIP_1) | instid1(VALU_DEP_4)
	v_lshlrev_b64 v[4:5], 3, v[4:5]
	v_mov_b32_e32 v23, v35
	v_mad_u64_u32 v[36:37], null, s8, v31, 0
	v_mov_b32_e32 v25, v30
	v_lshlrev_b64 v[18:19], 3, v[18:19]
	v_add_co_u32 v4, s0, v32, v4
	v_lshlrev_b64 v[22:23], 3, v[22:23]
	v_add_co_ci_u32_e64 v5, s0, v33, v5, s0
	v_mov_b32_e32 v30, v37
	v_add_co_u32 v18, s0, v32, v18
	v_lshlrev_b64 v[24:25], 3, v[24:25]
	v_add_co_ci_u32_e64 v19, s0, v33, v19, s0
	s_delay_alu instid0(VALU_DEP_4) | instskip(SKIP_2) | instid1(VALU_DEP_1)
	v_mad_u64_u32 v[34:35], null, s9, v31, v[30:31]
	v_mad_u64_u32 v[30:31], null, s8, v44, 0
	v_add_co_u32 v22, s0, v32, v22
	v_add_co_ci_u32_e64 v23, s0, v33, v23, s0
	v_add_co_u32 v38, s0, v32, v24
	s_delay_alu instid0(VALU_DEP_4) | instskip(SKIP_2) | instid1(VALU_DEP_3)
	v_dual_mov_b32 v24, v31 :: v_dual_mov_b32 v37, v34
	v_mad_u64_u32 v[34:35], null, s8, v45, 0
	v_add_co_ci_u32_e64 v39, s0, v33, v25, s0
	v_mad_u64_u32 v[42:43], null, s9, v44, v[24:25]
	s_delay_alu instid0(VALU_DEP_4)
	v_lshlrev_b64 v[36:37], 3, v[36:37]
	v_add_nc_u32_e32 v44, 0x14d, v0
	s_clause 0x3
	global_load_b64 v[4:5], v[4:5], off
	global_load_b64 v[24:25], v[18:19], off
	;; [unrolled: 1-line block ×4, first 2 shown]
	v_mad_u64_u32 v[38:39], null, s8, v44, 0
	v_mov_b32_e32 v31, v42
	v_mad_u64_u32 v[42:43], null, s9, v45, v[35:36]
	v_add_co_u32 v36, s0, v32, v36
	s_delay_alu instid0(VALU_DEP_1) | instskip(NEXT) | instid1(VALU_DEP_3)
	v_add_co_ci_u32_e64 v37, s0, v33, v37, s0
	v_mov_b32_e32 v35, v42
	s_waitcnt vmcnt(6)
	v_mad_u64_u32 v[42:43], null, s9, v44, v[39:40]
	v_mad_u64_u32 v[43:44], null, s8, v50, 0
	s_delay_alu instid0(VALU_DEP_3) | instskip(NEXT) | instid1(VALU_DEP_2)
	v_lshlrev_b64 v[34:35], 3, v[34:35]
	v_dual_mov_b32 v39, v42 :: v_dual_mov_b32 v42, v44
	s_delay_alu instid0(VALU_DEP_1) | instskip(SKIP_3) | instid1(VALU_DEP_3)
	v_mad_u64_u32 v[44:45], null, s9, v50, v[42:43]
	v_dual_mov_b32 v42, v49 :: v_dual_add_nc_u32 v45, 0x1f5, v0
	v_lshlrev_b64 v[30:31], 3, v[30:31]
	v_mad_u64_u32 v[50:51], null, s8, v63, 0
	v_mad_u64_u32 v[58:59], null, s9, v60, v[42:43]
	s_delay_alu instid0(VALU_DEP_4) | instskip(NEXT) | instid1(VALU_DEP_4)
	v_mad_u64_u32 v[59:60], null, s8, v45, 0
	v_add_co_u32 v30, s0, v32, v30
	s_delay_alu instid0(VALU_DEP_1) | instskip(SKIP_1) | instid1(VALU_DEP_4)
	v_add_co_ci_u32_e64 v31, s0, v33, v31, s0
	v_add_co_u32 v34, s0, v32, v34
	v_mov_b32_e32 v42, v60
	v_lshlrev_b64 v[38:39], 3, v[38:39]
	v_add_co_ci_u32_e64 v35, s0, v33, v35, s0
	v_lshlrev_b64 v[43:44], 3, v[43:44]
	v_mov_b32_e32 v49, v58
	s_delay_alu instid0(VALU_DEP_4) | instskip(SKIP_2) | instid1(VALU_DEP_4)
	v_add_co_u32 v52, s0, v32, v38
	v_mov_b32_e32 v38, v51
	v_add_co_ci_u32_e64 v53, s0, v33, v39, s0
	v_lshlrev_b64 v[48:49], 3, v[48:49]
	s_delay_alu instid0(VALU_DEP_3)
	v_mad_u64_u32 v[61:62], null, s9, v63, v[38:39]
	v_mad_u64_u32 v[62:63], null, s8, v65, 0
	s_clause 0x3
	global_load_b64 v[38:39], v[36:37], off
	global_load_b64 v[36:37], v[30:31], off
	;; [unrolled: 1-line block ×4, first 2 shown]
	v_mad_u64_u32 v[52:53], null, s9, v45, v[42:43]
	v_add_co_u32 v43, s0, v32, v43
	v_dual_mov_b32 v51, v61 :: v_dual_mov_b32 v42, v63
	v_add_co_ci_u32_e64 v44, s0, v33, v44, s0
	s_delay_alu instid0(VALU_DEP_4) | instskip(NEXT) | instid1(VALU_DEP_3)
	v_mov_b32_e32 v60, v52
	v_lshlrev_b64 v[50:51], 3, v[50:51]
	s_delay_alu instid0(VALU_DEP_4) | instskip(SKIP_1) | instid1(VALU_DEP_1)
	v_mad_u64_u32 v[63:64], null, s9, v65, v[42:43]
	v_add_co_u32 v48, s0, v32, v48
	v_add_co_ci_u32_e64 v49, s0, v33, v49, s0
	v_lshlrev_b64 v[52:53], 3, v[59:60]
	v_add_co_u32 v58, s0, v32, v50
	s_delay_alu instid0(VALU_DEP_1) | instskip(SKIP_1) | instid1(VALU_DEP_4)
	v_add_co_ci_u32_e64 v59, s0, v33, v51, s0
	v_lshlrev_b64 v[50:51], 3, v[62:63]
	v_add_co_u32 v60, s0, v32, v52
	s_delay_alu instid0(VALU_DEP_1) | instskip(NEXT) | instid1(VALU_DEP_3)
	v_add_co_ci_u32_e64 v61, s0, v33, v53, s0
	v_add_co_u32 v32, s0, v32, v50
	s_delay_alu instid0(VALU_DEP_1)
	v_add_co_ci_u32_e64 v33, s0, v33, v51, s0
	s_clause 0x4
	global_load_b64 v[50:51], v[43:44], off
	global_load_b64 v[52:53], v[48:49], off
	;; [unrolled: 1-line block ×5, first 2 shown]
.LBB0_11:
	s_or_b32 exec_lo, exec_lo, s2
.LBB0_12:
	s_delay_alu instid0(SALU_CYCLE_1)
	s_or_b32 exec_lo, exec_lo, s1
	s_waitcnt vmcnt(1)
	v_dual_add_f32 v32, v20, v46 :: v_dual_sub_f32 v61, v29, v57
	s_waitcnt vmcnt(0)
	v_dual_sub_f32 v58, v47, v55 :: v_dual_add_f32 v59, v46, v54
	v_add_f32_e32 v60, v28, v56
	s_delay_alu instid0(VALU_DEP_3) | instskip(SKIP_1) | instid1(VALU_DEP_4)
	v_add_f32_e32 v32, v32, v28
	v_mul_hi_u32 v33, 0xaaaaaaab, v1
	v_mul_f32_e32 v65, 0xbf6f5d39, v58
	v_mul_f32_e32 v63, 0xbf52af12, v58
	;; [unrolled: 1-line block ×3, first 2 shown]
	v_dual_add_f32 v32, v32, v14 :: v_dual_mul_f32 v67, 0xbf52af12, v61
	v_add_f32_e32 v76, v18, v48
	s_delay_alu instid0(VALU_DEP_4) | instskip(SKIP_4) | instid1(VALU_DEP_4)
	v_fmamk_f32 v70, v59, 0x3f116cb1, v63
	v_fma_f32 v63, 0x3f116cb1, v59, -v63
	v_mul_f32_e32 v64, 0xbf7e222b, v58
	v_dual_add_f32 v32, v32, v16 :: v_dual_fmamk_f32 v69, v59, 0x3f62ad3f, v62
	v_lshrrev_b32_e32 v33, 1, v33
	v_add_f32_e32 v63, v63, v20
	s_delay_alu instid0(VALU_DEP_4)
	v_fmamk_f32 v71, v59, 0x3df6dbef, v64
	v_mul_f32_e32 v66, 0xbf29c268, v58
	v_add_f32_e32 v32, v32, v10
	v_lshl_add_u32 v33, v33, 1, v33
	v_add_f32_e32 v69, v69, v20
	v_add_f32_e32 v71, v71, v20
	s_delay_alu instid0(VALU_DEP_4) | instskip(SKIP_3) | instid1(VALU_DEP_4)
	v_dual_fmamk_f32 v73, v59, 0xbf3f9e67, v66 :: v_dual_add_f32 v32, v32, v6
	v_mul_f32_e32 v68, 0xbf6f5d39, v61
	v_fma_f32 v62, 0x3f62ad3f, v59, -v62
	v_fma_f32 v64, 0x3df6dbef, v59, -v64
	v_dual_add_f32 v73, v73, v20 :: v_dual_fmamk_f32 v72, v59, 0xbeb58ec6, v65
	s_delay_alu instid0(VALU_DEP_4)
	v_fmamk_f32 v75, v60, 0xbeb58ec6, v68
	v_fma_f32 v65, 0xbeb58ec6, v59, -v65
	v_mul_f32_e32 v58, 0xbe750f2a, v58
	v_fma_f32 v66, 0xbf3f9e67, v59, -v66
	v_add_f32_e32 v62, v62, v20
	v_sub_nc_u32_e32 v1, v1, v33
	s_delay_alu instid0(VALU_DEP_4)
	v_dual_add_f32 v65, v65, v20 :: v_dual_fmamk_f32 v74, v59, 0xbf788fa5, v58
	v_fma_f32 v58, 0xbf788fa5, v59, -v58
	v_fmamk_f32 v59, v60, 0x3f116cb1, v67
	v_add_f32_e32 v32, v32, v8
	v_add_f32_e32 v72, v72, v20
	;; [unrolled: 1-line block ×7, first 2 shown]
	v_mul_u32_u24_e32 v20, 0x222, v1
	v_dual_add_f32 v1, v59, v69 :: v_dual_add_f32 v32, v32, v12
	v_mul_f32_e32 v59, 0xbe750f2a, v61
	v_mul_f32_e32 v69, 0x3f7e222b, v61
	v_fma_f32 v67, 0x3f116cb1, v60, -v67
	v_cmp_gt_u32_e64 s1, 3, v0
	v_dual_add_f32 v32, v32, v26 :: v_dual_add_f32 v79, v6, v8
	s_delay_alu instid0(VALU_DEP_3) | instskip(NEXT) | instid1(VALU_DEP_2)
	v_add_f32_e32 v62, v67, v62
	v_add_f32_e32 v32, v32, v40
	s_delay_alu instid0(VALU_DEP_1) | instskip(NEXT) | instid1(VALU_DEP_1)
	v_add_f32_e32 v32, v32, v56
	v_add_f32_e32 v77, v32, v54
	v_fma_f32 v32, 0xbeb58ec6, v60, -v68
	s_delay_alu instid0(VALU_DEP_1)
	v_add_f32_e32 v32, v32, v63
	v_fmamk_f32 v63, v60, 0xbf788fa5, v59
	v_add_f32_e32 v67, v75, v70
	v_fma_f32 v59, 0xbf788fa5, v60, -v59
	v_mul_f32_e32 v68, 0x3f29c268, v61
	v_mul_f32_e32 v61, 0x3eedf032, v61
	v_add_f32_e32 v63, v63, v71
	v_add_f32_e32 v71, v14, v40
	s_delay_alu instid0(VALU_DEP_4) | instskip(SKIP_2) | instid1(VALU_DEP_2)
	v_dual_add_f32 v59, v59, v64 :: v_dual_fmamk_f32 v70, v60, 0xbf3f9e67, v68
	v_fma_f32 v68, 0xbf3f9e67, v60, -v68
	v_add_f32_e32 v75, v22, v44
	v_dual_add_f32 v70, v70, v72 :: v_dual_add_f32 v65, v68, v65
	v_sub_f32_e32 v68, v15, v41
	s_delay_alu instid0(VALU_DEP_1) | instskip(SKIP_2) | instid1(VALU_DEP_1)
	v_mul_f32_e32 v72, 0xbf7e222b, v68
	v_fmamk_f32 v64, v60, 0x3df6dbef, v69
	v_fma_f32 v69, 0x3df6dbef, v60, -v69
	v_add_f32_e32 v33, v69, v33
	s_delay_alu instid0(VALU_DEP_3) | instskip(SKIP_3) | instid1(VALU_DEP_4)
	v_dual_fmamk_f32 v69, v71, 0x3df6dbef, v72 :: v_dual_add_f32 v64, v64, v73
	v_fmamk_f32 v73, v60, 0x3f62ad3f, v61
	v_fma_f32 v60, 0x3f62ad3f, v60, -v61
	v_mul_f32_e32 v61, 0xbe750f2a, v68
	v_add_f32_e32 v1, v69, v1
	s_delay_alu instid0(VALU_DEP_3) | instskip(SKIP_1) | instid1(VALU_DEP_4)
	v_dual_mul_f32 v69, 0x3f6f5d39, v68 :: v_dual_add_f32 v58, v60, v58
	v_fma_f32 v60, 0x3df6dbef, v71, -v72
	v_fmamk_f32 v72, v71, 0xbf788fa5, v61
	v_fma_f32 v61, 0xbf788fa5, v71, -v61
	s_delay_alu instid0(VALU_DEP_3) | instskip(NEXT) | instid1(VALU_DEP_3)
	v_add_f32_e32 v60, v60, v62
	v_add_f32_e32 v62, v72, v67
	s_delay_alu instid0(VALU_DEP_3) | instskip(SKIP_1) | instid1(VALU_DEP_2)
	v_dual_add_f32 v32, v61, v32 :: v_dual_fmamk_f32 v61, v71, 0xbeb58ec6, v69
	v_fma_f32 v69, 0xbeb58ec6, v71, -v69
	v_add_f32_e32 v61, v61, v63
	v_dual_add_f32 v66, v73, v66 :: v_dual_mul_f32 v67, 0x3eedf032, v68
	s_delay_alu instid0(VALU_DEP_3) | instskip(NEXT) | instid1(VALU_DEP_2)
	v_dual_mul_f32 v72, 0xbf52af12, v68 :: v_dual_add_f32 v59, v69, v59
	v_fmamk_f32 v73, v71, 0x3f62ad3f, v67
	v_fma_f32 v67, 0x3f62ad3f, v71, -v67
	s_delay_alu instid0(VALU_DEP_2) | instskip(NEXT) | instid1(VALU_DEP_2)
	v_add_f32_e32 v69, v73, v70
	v_add_f32_e32 v65, v67, v65
	v_sub_f32_e32 v67, v17, v27
	v_dual_fmamk_f32 v63, v71, 0x3f116cb1, v72 :: v_dual_add_f32 v70, v16, v26
	s_delay_alu instid0(VALU_DEP_1) | instskip(SKIP_2) | instid1(VALU_DEP_2)
	v_add_f32_e32 v63, v63, v64
	v_fma_f32 v64, 0x3f116cb1, v71, -v72
	v_mul_f32_e32 v68, 0xbf29c268, v68
	v_dual_mul_f32 v72, 0xbf6f5d39, v67 :: v_dual_add_f32 v33, v64, v33
	s_delay_alu instid0(VALU_DEP_2) | instskip(SKIP_1) | instid1(VALU_DEP_2)
	v_fmamk_f32 v73, v71, 0xbf3f9e67, v68
	v_fma_f32 v68, 0xbf3f9e67, v71, -v68
	v_dual_fmamk_f32 v71, v70, 0xbeb58ec6, v72 :: v_dual_add_f32 v66, v73, v66
	s_delay_alu instid0(VALU_DEP_1) | instskip(SKIP_2) | instid1(VALU_DEP_1)
	v_dual_add_f32 v58, v68, v58 :: v_dual_add_f32 v1, v71, v1
	v_mul_f32_e32 v71, 0x3eedf032, v67
	v_fma_f32 v68, 0xbeb58ec6, v70, -v72
	v_add_f32_e32 v60, v68, v60
	v_mul_f32_e32 v68, 0xbf7e222b, v67
	s_delay_alu instid0(VALU_DEP_1) | instskip(NEXT) | instid1(VALU_DEP_1)
	v_fmamk_f32 v73, v70, 0x3df6dbef, v68
	v_dual_mul_f32 v64, 0x3f29c268, v67 :: v_dual_add_f32 v69, v73, v69
	s_delay_alu instid0(VALU_DEP_1) | instskip(SKIP_1) | instid1(VALU_DEP_1)
	v_fmamk_f32 v72, v70, 0xbf3f9e67, v64
	v_fma_f32 v64, 0xbf3f9e67, v70, -v64
	v_add_f32_e32 v32, v64, v32
	v_fmamk_f32 v64, v70, 0x3f62ad3f, v71
	v_fma_f32 v71, 0x3f62ad3f, v70, -v71
	s_delay_alu instid0(VALU_DEP_2) | instskip(NEXT) | instid1(VALU_DEP_2)
	v_add_f32_e32 v61, v64, v61
	v_dual_add_f32 v62, v72, v62 :: v_dual_add_f32 v59, v71, v59
	v_dual_mul_f32 v72, 0x3e750f2a, v67 :: v_dual_add_f32 v71, v10, v12
	v_fma_f32 v68, 0x3df6dbef, v70, -v68
	v_mul_f32_e32 v67, 0x3f52af12, v67
	s_delay_alu instid0(VALU_DEP_2) | instskip(NEXT) | instid1(VALU_DEP_2)
	v_dual_fmamk_f32 v64, v70, 0xbf788fa5, v72 :: v_dual_add_f32 v65, v68, v65
	v_dual_sub_f32 v68, v11, v13 :: v_dual_fmamk_f32 v73, v70, 0x3f116cb1, v67
	s_delay_alu instid0(VALU_DEP_2) | instskip(SKIP_2) | instid1(VALU_DEP_2)
	v_add_f32_e32 v63, v64, v63
	v_fma_f32 v64, 0xbf788fa5, v70, -v72
	v_fma_f32 v67, 0x3f116cb1, v70, -v67
	v_dual_mul_f32 v72, 0xbf29c268, v68 :: v_dual_add_f32 v33, v64, v33
	v_mul_f32_e32 v64, 0x3f7e222b, v68
	s_delay_alu instid0(VALU_DEP_2) | instskip(NEXT) | instid1(VALU_DEP_1)
	v_fmamk_f32 v70, v71, 0xbf3f9e67, v72
	v_dual_add_f32 v58, v67, v58 :: v_dual_add_f32 v1, v70, v1
	v_fma_f32 v67, 0xbf3f9e67, v71, -v72
	s_delay_alu instid0(VALU_DEP_4) | instskip(SKIP_2) | instid1(VALU_DEP_4)
	v_fmamk_f32 v72, v71, 0x3df6dbef, v64
	v_mul_f32_e32 v70, 0xbf52af12, v68
	v_add_f32_e32 v66, v73, v66
	v_dual_add_f32 v73, v30, v34 :: v_dual_add_f32 v78, v67, v60
	s_delay_alu instid0(VALU_DEP_4) | instskip(SKIP_2) | instid1(VALU_DEP_2)
	v_add_f32_e32 v60, v72, v62
	v_mul_f32_e32 v62, 0x3e750f2a, v68
	v_fmamk_f32 v67, v71, 0x3f116cb1, v70
	v_fmamk_f32 v72, v71, 0xbf788fa5, v62
	s_delay_alu instid0(VALU_DEP_2) | instskip(SKIP_1) | instid1(VALU_DEP_3)
	v_add_f32_e32 v61, v67, v61
	v_fma_f32 v62, 0xbf788fa5, v71, -v62
	v_add_f32_e32 v67, v72, v69
	v_fma_f32 v64, 0x3df6dbef, v71, -v64
	s_delay_alu instid0(VALU_DEP_3) | instskip(SKIP_1) | instid1(VALU_DEP_3)
	v_dual_add_f32 v62, v62, v65 :: v_dual_mul_f32 v65, 0xbf6f5d39, v68
	v_sub_f32_e32 v72, v7, v9
	v_add_f32_e32 v32, v64, v32
	v_fma_f32 v64, 0x3f116cb1, v71, -v70
	s_delay_alu instid0(VALU_DEP_4) | instskip(SKIP_2) | instid1(VALU_DEP_2)
	v_fmamk_f32 v69, v71, 0xbeb58ec6, v65
	v_mul_f32_e32 v70, 0x3eedf032, v68
	v_fma_f32 v65, 0xbeb58ec6, v71, -v65
	v_dual_add_f32 v59, v64, v59 :: v_dual_fmamk_f32 v64, v71, 0x3f62ad3f, v70
	v_fma_f32 v68, 0x3f62ad3f, v71, -v70
	s_delay_alu instid0(VALU_DEP_3) | instskip(NEXT) | instid1(VALU_DEP_3)
	v_dual_add_f32 v80, v65, v58 :: v_dual_add_f32 v65, v4, v24
	v_dual_add_f32 v63, v64, v63 :: v_dual_mul_f32 v70, 0x3eedf032, v72
	s_delay_alu instid0(VALU_DEP_1) | instskip(NEXT) | instid1(VALU_DEP_1)
	v_dual_add_f32 v33, v68, v33 :: v_dual_fmamk_f32 v58, v79, 0x3f62ad3f, v70
	v_add_f32_e32 v83, v58, v60
	v_mul_f32_e32 v64, 0xbe750f2a, v72
	v_add_f32_e32 v68, v69, v66
	v_sub_f32_e32 v69, v25, v43
	s_delay_alu instid0(VALU_DEP_3) | instskip(SKIP_2) | instid1(VALU_DEP_3)
	v_fmamk_f32 v71, v79, 0xbf788fa5, v64
	v_fma_f32 v82, 0xbf788fa5, v79, -v64
	v_dual_add_f32 v64, v65, v22 :: v_dual_mul_f32 v65, 0x3f52af12, v72
	v_add_f32_e32 v81, v71, v1
	v_mul_f32_e32 v1, 0xbf29c268, v72
	s_delay_alu instid0(VALU_DEP_1) | instskip(SKIP_1) | instid1(VALU_DEP_1)
	v_dual_add_f32 v71, v38, v52 :: v_dual_fmamk_f32 v60, v79, 0xbf3f9e67, v1
	v_fma_f32 v1, 0xbf3f9e67, v79, -v1
	v_dual_add_f32 v85, v60, v61 :: v_dual_add_f32 v86, v1, v59
	v_mul_f32_e32 v1, 0xbf6f5d39, v72
	v_fma_f32 v59, 0x3f116cb1, v79, -v65
	v_mul_f32_e32 v72, 0x3f7e222b, v72
	s_delay_alu instid0(VALU_DEP_3) | instskip(NEXT) | instid1(VALU_DEP_3)
	v_fmamk_f32 v60, v79, 0xbeb58ec6, v1
	v_dual_add_f32 v88, v59, v62 :: v_dual_mul_f32 v59, 0x3f116cb1, v75
	v_fma_f32 v1, 0xbeb58ec6, v79, -v1
	s_delay_alu instid0(VALU_DEP_3) | instskip(SKIP_2) | instid1(VALU_DEP_4)
	v_add_f32_e32 v89, v60, v63
	v_fma_f32 v58, 0x3f62ad3f, v79, -v70
	v_add_f32_e32 v70, v36, v50
	v_dual_add_f32 v90, v1, v33 :: v_dual_mul_f32 v63, 0xbeb58ec6, v71
	s_delay_alu instid0(VALU_DEP_3) | instskip(SKIP_2) | instid1(VALU_DEP_1)
	v_add_f32_e32 v84, v58, v32
	v_add_f32_e32 v32, v64, v18
	v_fmamk_f32 v58, v79, 0x3f116cb1, v65
	v_dual_add_f32 v32, v32, v38 :: v_dual_add_f32 v87, v58, v67
	s_delay_alu instid0(VALU_DEP_1) | instskip(NEXT) | instid1(VALU_DEP_1)
	v_dual_fmamk_f32 v67, v79, 0x3df6dbef, v72 :: v_dual_add_f32 v32, v32, v36
	v_add_f32_e32 v91, v67, v68
	v_dual_sub_f32 v68, v31, v35 :: v_dual_mul_f32 v67, 0xbf788fa5, v73
	s_delay_alu instid0(VALU_DEP_3) | instskip(SKIP_1) | instid1(VALU_DEP_3)
	v_add_f32_e32 v32, v32, v30
	v_dual_sub_f32 v64, v39, v53 :: v_dual_mul_f32 v65, 0xbf3f9e67, v70
	v_fmamk_f32 v93, v68, 0xbe750f2a, v67
	s_delay_alu instid0(VALU_DEP_3) | instskip(SKIP_2) | instid1(VALU_DEP_2)
	v_add_f32_e32 v1, v32, v34
	v_add_f32_e32 v74, v24, v42
	v_sub_f32_e32 v60, v23, v45
	v_dual_add_f32 v1, v50, v1 :: v_dual_mul_f32 v58, 0x3f62ad3f, v74
	s_delay_alu instid0(VALU_DEP_2) | instskip(NEXT) | instid1(VALU_DEP_2)
	v_fmamk_f32 v33, v60, 0xbf52af12, v59
	v_add_f32_e32 v1, v52, v1
	s_delay_alu instid0(VALU_DEP_3) | instskip(NEXT) | instid1(VALU_DEP_2)
	v_fmamk_f32 v61, v69, 0xbeedf032, v58
	v_add_f32_e32 v1, v48, v1
	s_delay_alu instid0(VALU_DEP_2) | instskip(NEXT) | instid1(VALU_DEP_2)
	v_dual_add_f32 v32, v4, v61 :: v_dual_mul_f32 v61, 0x3df6dbef, v76
	v_dual_add_f32 v1, v44, v1 :: v_dual_sub_f32 v66, v37, v51
	v_sub_f32_e32 v62, v19, v49
	s_delay_alu instid0(VALU_DEP_3) | instskip(SKIP_2) | instid1(VALU_DEP_4)
	v_add_f32_e32 v32, v32, v33
	v_fma_f32 v79, 0x3df6dbef, v79, -v72
	v_mad_u32_u24 v72, v0, 52, 0
	v_fmamk_f32 v33, v62, 0xbf7e222b, v61
	s_delay_alu instid0(VALU_DEP_2) | instskip(NEXT) | instid1(VALU_DEP_2)
	v_lshl_add_u32 v72, v20, 2, v72
	v_add_f32_e32 v32, v32, v33
	v_fmamk_f32 v33, v64, 0xbf6f5d39, v63
	s_delay_alu instid0(VALU_DEP_1) | instskip(NEXT) | instid1(VALU_DEP_1)
	v_dual_add_f32 v32, v32, v33 :: v_dual_fmamk_f32 v33, v66, 0xbf29c268, v65
	v_add_f32_e32 v92, v32, v33
	v_add_f32_e32 v32, v82, v78
	v_dual_add_f32 v33, v42, v1 :: v_dual_add_f32 v78, v79, v80
	ds_store_2addr_b32 v72, v77, v81 offset1:1
	ds_store_2addr_b32 v72, v83, v85 offset0:2 offset1:3
	ds_store_2addr_b32 v72, v87, v89 offset0:4 offset1:5
	;; [unrolled: 1-line block ×5, first 2 shown]
	ds_store_b32 v72, v32 offset:48
	v_add_f32_e32 v1, v92, v93
	s_and_saveexec_b32 s0, s1
	s_cbranch_execz .LBB0_14
; %bb.13:
	v_mul_f32_e32 v85, 0xbf3f9e67, v76
	v_dual_mul_f32 v88, 0x3f116cb1, v71 :: v_dual_mul_f32 v93, 0x3f116cb1, v76
	v_mul_f32_e32 v94, 0xbf3f9e67, v75
	v_mul_f32_e32 v95, 0x3f62ad3f, v71
	s_delay_alu instid0(VALU_DEP_4) | instskip(SKIP_2) | instid1(VALU_DEP_2)
	v_fmamk_f32 v89, v62, 0x3f29c268, v85
	v_mul_f32_e32 v77, 0xbf788fa5, v74
	v_fmac_f32_e32 v85, 0xbf29c268, v62
	v_fmamk_f32 v82, v69, 0x3e750f2a, v77
	s_delay_alu instid0(VALU_DEP_1) | instskip(SKIP_1) | instid1(VALU_DEP_1)
	v_dual_mul_f32 v79, 0xbf52af12, v60 :: v_dual_add_f32 v82, v4, v82
	v_mul_f32_e32 v81, 0x3f62ad3f, v75
	v_fmamk_f32 v86, v60, 0xbeedf032, v81
	s_delay_alu instid0(VALU_DEP_1) | instskip(NEXT) | instid1(VALU_DEP_1)
	v_dual_add_f32 v82, v82, v86 :: v_dual_fmac_f32 v81, 0x3eedf032, v60
	v_add_f32_e32 v82, v82, v89
	v_fmac_f32_e32 v77, 0xbe750f2a, v69
	v_mul_f32_e32 v80, 0xbf7e222b, v62
	v_mul_f32_e32 v89, 0xbf3f9e67, v74
	s_delay_alu instid0(VALU_DEP_3) | instskip(NEXT) | instid1(VALU_DEP_2)
	v_dual_add_f32 v77, v4, v77 :: v_dual_mul_f32 v84, 0xbf29c268, v66
	v_fmamk_f32 v92, v69, 0x3f29c268, v89
	v_fmac_f32_e32 v89, 0xbf29c268, v69
	s_delay_alu instid0(VALU_DEP_3) | instskip(NEXT) | instid1(VALU_DEP_1)
	v_add_f32_e32 v77, v77, v81
	v_dual_add_f32 v77, v77, v85 :: v_dual_fmamk_f32 v90, v64, 0xbf52af12, v88
	v_fmac_f32_e32 v88, 0x3f52af12, v64
	s_delay_alu instid0(VALU_DEP_1) | instskip(NEXT) | instid1(VALU_DEP_3)
	v_dual_add_f32 v77, v77, v88 :: v_dual_mul_f32 v78, 0xbeedf032, v69
	v_add_f32_e32 v81, v82, v90
	v_mul_f32_e32 v86, 0xbeb58ec6, v70
	s_delay_alu instid0(VALU_DEP_1) | instskip(NEXT) | instid1(VALU_DEP_1)
	v_fmamk_f32 v91, v66, 0x3f6f5d39, v86
	v_add_f32_e32 v81, v81, v91
	v_dual_mul_f32 v83, 0xbf6f5d39, v64 :: v_dual_fmac_f32 v86, 0xbf6f5d39, v66
	v_dual_mul_f32 v90, 0x3df6dbef, v75 :: v_dual_add_f32 v91, v4, v92
	s_delay_alu instid0(VALU_DEP_2) | instskip(NEXT) | instid1(VALU_DEP_2)
	v_dual_add_f32 v77, v77, v86 :: v_dual_fmamk_f32 v88, v62, 0x3f52af12, v93
	v_fmamk_f32 v92, v60, 0xbf7e222b, v90
	v_mul_f32_e32 v82, 0x3df6dbef, v73
	v_fmac_f32_e32 v93, 0xbf52af12, v62
	s_delay_alu instid0(VALU_DEP_2) | instskip(NEXT) | instid1(VALU_DEP_1)
	v_fmamk_f32 v85, v68, 0xbf7e222b, v82
	v_add_f32_e32 v81, v81, v85
	v_add_f32_e32 v85, v91, v92
	v_mul_f32_e32 v91, 0xbf788fa5, v71
	v_mul_f32_e32 v87, 0xbe750f2a, v68
	;; [unrolled: 1-line block ×3, first 2 shown]
	s_delay_alu instid0(VALU_DEP_3) | instskip(SKIP_1) | instid1(VALU_DEP_1)
	v_fmamk_f32 v86, v64, 0xbe750f2a, v91
	v_fmac_f32_e32 v82, 0x3f7e222b, v68
	v_add_f32_e32 v77, v77, v82
	v_dual_add_f32 v85, v85, v88 :: v_dual_add_f32 v82, v4, v89
	v_mul_f32_e32 v88, 0x3f62ad3f, v70
	v_mul_f32_e32 v89, 0xbeb58ec6, v73
	s_delay_alu instid0(VALU_DEP_3) | instskip(NEXT) | instid1(VALU_DEP_1)
	v_dual_add_f32 v85, v85, v86 :: v_dual_fmac_f32 v90, 0x3f7e222b, v60
	v_add_f32_e32 v82, v82, v90
	v_fmamk_f32 v90, v69, 0x3f6f5d39, v92
	v_fmac_f32_e32 v92, 0xbf6f5d39, v69
	s_delay_alu instid0(VALU_DEP_3) | instskip(SKIP_2) | instid1(VALU_DEP_2)
	v_dual_add_f32 v82, v82, v93 :: v_dual_mul_f32 v93, 0x3f62ad3f, v76
	v_fmamk_f32 v86, v66, 0xbeedf032, v88
	v_fmac_f32_e32 v88, 0x3eedf032, v66
	v_dual_add_f32 v92, v4, v92 :: v_dual_add_f32 v85, v85, v86
	v_fmamk_f32 v86, v68, 0x3f6f5d39, v89
	s_delay_alu instid0(VALU_DEP_1) | instskip(SKIP_3) | instid1(VALU_DEP_2)
	v_add_f32_e32 v85, v85, v86
	v_add_f32_e32 v86, v4, v90
	v_fmamk_f32 v90, v60, 0xbf29c268, v94
	v_fmac_f32_e32 v94, 0x3f29c268, v60
	v_add_f32_e32 v86, v86, v90
	v_fmamk_f32 v90, v62, 0xbeedf032, v93
	s_delay_alu instid0(VALU_DEP_3) | instskip(SKIP_1) | instid1(VALU_DEP_3)
	v_dual_fmac_f32 v91, 0x3e750f2a, v64 :: v_dual_add_f32 v92, v92, v94
	v_mul_f32_e32 v94, 0x3f116cb1, v73
	v_add_f32_e32 v86, v86, v90
	s_delay_alu instid0(VALU_DEP_3) | instskip(SKIP_3) | instid1(VALU_DEP_4)
	v_add_f32_e32 v82, v82, v91
	v_mul_f32_e32 v91, 0x3df6dbef, v71
	v_mul_f32_e32 v90, 0xbf788fa5, v70
	v_dual_mul_f32 v71, 0xbf3f9e67, v71 :: v_dual_sub_f32 v58, v58, v78
	v_add_f32_e32 v82, v82, v88
	s_delay_alu instid0(VALU_DEP_4) | instskip(NEXT) | instid1(VALU_DEP_1)
	v_fmamk_f32 v88, v64, 0x3f7e222b, v91
	v_dual_fmac_f32 v93, 0x3eedf032, v62 :: v_dual_add_f32 v86, v86, v88
	s_delay_alu instid0(VALU_DEP_1) | instskip(SKIP_3) | instid1(VALU_DEP_4)
	v_dual_fmac_f32 v89, 0xbf6f5d39, v68 :: v_dual_add_f32 v92, v92, v93
	v_fmac_f32_e32 v91, 0xbf7e222b, v64
	v_mul_f32_e32 v93, 0xbf788fa5, v75
	v_fmamk_f32 v88, v66, 0xbe750f2a, v90
	v_dual_add_f32 v82, v82, v89 :: v_dual_mul_f32 v89, 0x3df6dbef, v74
	s_delay_alu instid0(VALU_DEP_4) | instskip(NEXT) | instid1(VALU_DEP_3)
	v_dual_add_f32 v91, v92, v91 :: v_dual_fmac_f32 v90, 0x3e750f2a, v66
	v_add_f32_e32 v86, v86, v88
	v_fmamk_f32 v88, v68, 0xbf52af12, v94
	s_delay_alu instid0(VALU_DEP_4)
	v_fmamk_f32 v92, v69, 0x3f7e222b, v89
	v_fmac_f32_e32 v89, 0xbf7e222b, v69
	v_mul_f32_e32 v75, 0xbeb58ec6, v75
	v_mul_f32_e32 v74, 0x3f116cb1, v74
	v_add_f32_e32 v86, v86, v88
	v_add_f32_e32 v88, v91, v90
	;; [unrolled: 1-line block ×3, first 2 shown]
	v_fmamk_f32 v91, v60, 0x3e750f2a, v93
	v_dual_mul_f32 v92, 0xbeb58ec6, v76 :: v_dual_add_f32 v89, v4, v89
	s_delay_alu instid0(VALU_DEP_2) | instskip(NEXT) | instid1(VALU_DEP_2)
	v_dual_fmac_f32 v93, 0xbe750f2a, v60 :: v_dual_add_f32 v90, v90, v91
	v_fmamk_f32 v91, v62, 0xbf6f5d39, v92
	s_delay_alu instid0(VALU_DEP_2) | instskip(SKIP_2) | instid1(VALU_DEP_4)
	v_add_f32_e32 v89, v89, v93
	v_mul_f32_e32 v93, 0x3f116cb1, v70
	v_fmac_f32_e32 v94, 0x3f52af12, v68
	v_dual_add_f32 v90, v90, v91 :: v_dual_fmamk_f32 v91, v64, 0xbeedf032, v95
	s_delay_alu instid0(VALU_DEP_1) | instskip(NEXT) | instid1(VALU_DEP_3)
	v_dual_fmac_f32 v95, 0x3eedf032, v64 :: v_dual_add_f32 v90, v90, v91
	v_dual_fmamk_f32 v91, v66, 0x3f52af12, v93 :: v_dual_add_f32 v88, v88, v94
	v_fmamk_f32 v94, v69, 0x3f52af12, v74
	v_dual_fmac_f32 v74, 0xbf52af12, v69 :: v_dual_fmac_f32 v93, 0xbf52af12, v66
	s_delay_alu instid0(VALU_DEP_1) | instskip(SKIP_1) | instid1(VALU_DEP_1)
	v_add_f32_e32 v74, v4, v74
	v_fmac_f32_e32 v92, 0x3f6f5d39, v62
	v_dual_add_f32 v89, v89, v92 :: v_dual_mul_f32 v92, 0xbf3f9e67, v73
	s_delay_alu instid0(VALU_DEP_1)
	v_add_f32_e32 v89, v89, v95
	v_fmamk_f32 v95, v60, 0x3f6f5d39, v75
	v_fmac_f32_e32 v75, 0xbf6f5d39, v60
	v_fmamk_f32 v60, v64, 0xbf29c268, v71
	v_fmac_f32_e32 v71, 0x3f29c268, v64
	v_dual_mul_f32 v76, 0xbf788fa5, v76 :: v_dual_add_f32 v89, v89, v93
	s_delay_alu instid0(VALU_DEP_1) | instskip(SKIP_4) | instid1(VALU_DEP_3)
	v_fmamk_f32 v78, v62, 0x3e750f2a, v76
	v_fmac_f32_e32 v76, 0xbe750f2a, v62
	v_add_f32_e32 v94, v4, v94
	v_add_f32_e32 v4, v4, v58
	v_sub_f32_e32 v58, v59, v79
	v_add_f32_e32 v69, v94, v95
	v_add_f32_e32 v90, v90, v91
	s_delay_alu instid0(VALU_DEP_3) | instskip(SKIP_1) | instid1(VALU_DEP_4)
	v_add_f32_e32 v4, v4, v58
	v_dual_sub_f32 v58, v61, v80 :: v_dual_fmamk_f32 v91, v68, 0x3f29c268, v92
	v_dual_add_f32 v59, v69, v78 :: v_dual_fmac_f32 v92, 0xbf29c268, v68
	s_delay_alu instid0(VALU_DEP_2) | instskip(SKIP_2) | instid1(VALU_DEP_4)
	v_add_f32_e32 v4, v4, v58
	v_dual_sub_f32 v58, v63, v83 :: v_dual_mul_f32 v63, 0x3f62ad3f, v73
	v_add_f32_e32 v69, v74, v75
	v_dual_add_f32 v59, v59, v60 :: v_dual_mul_f32 v60, 0x3df6dbef, v70
	s_delay_alu instid0(VALU_DEP_3) | instskip(SKIP_1) | instid1(VALU_DEP_4)
	v_add_f32_e32 v4, v4, v58
	v_sub_f32_e32 v58, v65, v84
	v_add_f32_e32 v61, v69, v76
	v_add_nc_u32_e32 v65, 0x804, v72
	v_fmamk_f32 v62, v66, 0xbf7e222b, v60
	v_fmac_f32_e32 v60, 0x3f7e222b, v66
	s_delay_alu instid0(VALU_DEP_4) | instskip(SKIP_1) | instid1(VALU_DEP_4)
	v_dual_add_f32 v4, v4, v58 :: v_dual_add_f32 v61, v61, v71
	v_dual_sub_f32 v58, v67, v87 :: v_dual_add_nc_u32 v67, 0x814, v72
	v_dual_add_f32 v59, v59, v62 :: v_dual_fmamk_f32 v62, v68, 0xbeedf032, v63
	s_delay_alu instid0(VALU_DEP_3) | instskip(SKIP_2) | instid1(VALU_DEP_4)
	v_add_f32_e32 v60, v61, v60
	v_fmac_f32_e32 v63, 0x3eedf032, v68
	v_dual_add_f32 v61, v90, v91 :: v_dual_add_f32 v64, v89, v92
	v_dual_add_f32 v59, v59, v62 :: v_dual_add_nc_u32 v62, 0x7f4, v72
	s_delay_alu instid0(VALU_DEP_3)
	v_dual_add_f32 v60, v60, v63 :: v_dual_add_nc_u32 v63, 0x7fc, v72
	v_add_nc_u32_e32 v66, 0x80c, v72
	v_add_f32_e32 v4, v4, v58
	v_add_nc_u32_e32 v58, 0x7ec, v72
	ds_store_2addr_b32 v62, v60, v64 offset1:1
	ds_store_2addr_b32 v63, v88, v82 offset1:1
	ds_store_2addr_b32 v65, v77, v81 offset1:1
	ds_store_2addr_b32 v66, v85, v86 offset1:1
	ds_store_2addr_b32 v67, v61, v59 offset1:1
	ds_store_2addr_b32 v58, v33, v1 offset1:1
	ds_store_b32 v72, v4 offset:2076
.LBB0_14:
	s_or_b32 exec_lo, exec_lo, s0
	v_lshlrev_b32_e32 v69, 2, v20
	v_lshlrev_b32_e32 v58, 2, v0
	s_waitcnt lgkmcnt(0)
	s_barrier
	buffer_gl0_inv
	v_cmp_gt_u32_e64 s0, 26, v0
	v_add3_u32 v20, 0, v58, v69
	v_add3_u32 v68, 0, v69, v58
	s_delay_alu instid0(VALU_DEP_2)
	v_add_nc_u32_e32 v64, 0x400, v20
	v_add_nc_u32_e32 v4, 0x200, v20
	ds_load_2addr_b32 v[58:59], v20 offset0:117 offset1:182
	ds_load_2addr_b32 v[60:61], v20 offset0:39 offset1:78
	;; [unrolled: 1-line block ×5, first 2 shown]
	ds_load_b32 v70, v68
	ds_load_b32 v71, v20 offset:1924
	s_and_saveexec_b32 s2, s0
	s_cbranch_execz .LBB0_16
; %bb.15:
	ds_load_2addr_b32 v[32:33], v4 offset0:28 offset1:210
	ds_load_b32 v1, v20 offset:2080
.LBB0_16:
	s_or_b32 exec_lo, exec_lo, s2
	v_sub_f32_e32 v46, v46, v54
	v_add_f32_e32 v4, v21, v47
	v_dual_add_f32 v47, v47, v55 :: v_dual_sub_f32 v28, v28, v56
	s_delay_alu instid0(VALU_DEP_3) | instskip(NEXT) | instid1(VALU_DEP_3)
	v_dual_add_f32 v54, v29, v57 :: v_dual_mul_f32 v73, 0xbf7e222b, v46
	v_dual_mul_f32 v75, 0xbf29c268, v46 :: v_dual_add_f32 v4, v4, v29
	s_delay_alu instid0(VALU_DEP_3) | instskip(SKIP_1) | instid1(VALU_DEP_3)
	v_mul_f32_e32 v77, 0xbf6f5d39, v28
	v_dual_mul_f32 v29, 0xbeedf032, v46 :: v_dual_sub_f32 v14, v14, v40
	v_fma_f32 v83, 0xbf3f9e67, v47, -v75
	s_delay_alu instid0(VALU_DEP_4) | instskip(NEXT) | instid1(VALU_DEP_4)
	v_add_f32_e32 v4, v4, v15
	v_fma_f32 v85, 0xbeb58ec6, v54, -v77
	v_fmac_f32_e32 v77, 0xbeb58ec6, v54
	v_fma_f32 v79, 0x3f62ad3f, v47, -v29
	v_mul_f32_e32 v56, 0xbf52af12, v46
	v_dual_add_f32 v4, v4, v17 :: v_dual_fmac_f32 v29, 0x3f62ad3f, v47
	v_mul_f32_e32 v74, 0xbf6f5d39, v46
	v_fmac_f32_e32 v75, 0xbf3f9e67, v47
	v_add_f32_e32 v79, v79, v21
	v_fma_f32 v80, 0x3f116cb1, v47, -v56
	v_dual_add_f32 v4, v4, v11 :: v_dual_add_f32 v29, v29, v21
	s_delay_alu instid0(VALU_DEP_4) | instskip(SKIP_4) | instid1(VALU_DEP_4)
	v_add_f32_e32 v75, v75, v21
	v_fma_f32 v82, 0xbeb58ec6, v47, -v74
	v_add_f32_e32 v15, v15, v41
	v_fma_f32 v81, 0x3df6dbef, v47, -v73
	v_dual_mul_f32 v78, 0xbe750f2a, v28 :: v_dual_add_f32 v83, v83, v21
	v_add_f32_e32 v82, v82, v21
	v_add_f32_e32 v80, v80, v21
	v_add_f32_e32 v4, v4, v7
	v_fmac_f32_e32 v73, 0x3df6dbef, v47
	v_dual_mul_f32 v46, 0xbe750f2a, v46 :: v_dual_add_f32 v81, v81, v21
	v_fmac_f32_e32 v74, 0xbeb58ec6, v47
	s_delay_alu instid0(VALU_DEP_4) | instskip(NEXT) | instid1(VALU_DEP_4)
	v_add_f32_e32 v4, v4, v9
	v_dual_mul_f32 v76, 0xbf52af12, v28 :: v_dual_add_f32 v73, v73, v21
	s_delay_alu instid0(VALU_DEP_4) | instskip(SKIP_1) | instid1(VALU_DEP_4)
	v_fma_f32 v84, 0xbf788fa5, v47, -v46
	v_dual_sub_f32 v16, v16, v26 :: v_dual_add_f32 v11, v11, v13
	v_add_f32_e32 v4, v4, v13
	v_dual_sub_f32 v10, v10, v12 :: v_dual_add_f32 v7, v7, v9
	s_delay_alu instid0(VALU_DEP_4) | instskip(NEXT) | instid1(VALU_DEP_4)
	v_add_f32_e32 v84, v84, v21
	v_mul_f32_e32 v12, 0x3f52af12, v16
	s_delay_alu instid0(VALU_DEP_4)
	v_add_f32_e32 v4, v4, v27
	v_sub_f32_e32 v8, v6, v8
	s_waitcnt lgkmcnt(0)
	s_barrier
	buffer_gl0_inv
	v_dual_add_f32 v4, v4, v41 :: v_dual_mul_f32 v41, 0xbf7e222b, v14
	v_add_f32_e32 v17, v17, v27
	v_mul_f32_e32 v27, 0xbf6f5d39, v16
	s_delay_alu instid0(VALU_DEP_3)
	v_dual_mul_f32 v13, 0xbf29c268, v10 :: v_dual_add_f32 v4, v4, v57
	v_fma_f32 v57, 0xbf788fa5, v54, -v78
	v_fmac_f32_e32 v46, 0xbf788fa5, v47
	v_fmac_f32_e32 v78, 0xbf788fa5, v54
	v_mul_f32_e32 v9, 0xbe750f2a, v8
	v_add_f32_e32 v55, v4, v55
	v_dual_add_f32 v57, v57, v81 :: v_dual_fmac_f32 v56, 0x3f116cb1, v47
	v_fma_f32 v47, 0x3f116cb1, v54, -v76
	v_dual_fmac_f32 v76, 0x3f116cb1, v54 :: v_dual_add_f32 v73, v78, v73
	s_delay_alu instid0(VALU_DEP_3) | instskip(NEXT) | instid1(VALU_DEP_2)
	v_add_f32_e32 v56, v56, v21
	v_dual_add_f32 v29, v76, v29 :: v_dual_mul_f32 v4, 0x3f29c268, v28
	v_mul_f32_e32 v76, 0x3f7e222b, v28
	v_add_f32_e32 v74, v74, v21
	s_delay_alu instid0(VALU_DEP_4)
	v_add_f32_e32 v56, v77, v56
	v_mul_f32_e32 v28, 0x3eedf032, v28
	v_fma_f32 v77, 0xbf3f9e67, v54, -v4
	v_fmac_f32_e32 v4, 0xbf3f9e67, v54
	v_fma_f32 v78, 0x3df6dbef, v54, -v76
	v_dual_fmac_f32 v76, 0x3df6dbef, v54 :: v_dual_add_f32 v21, v46, v21
	s_delay_alu instid0(VALU_DEP_3) | instskip(SKIP_2) | instid1(VALU_DEP_4)
	v_add_f32_e32 v4, v4, v74
	v_fma_f32 v74, 0x3f62ad3f, v54, -v28
	v_fmac_f32_e32 v28, 0x3f62ad3f, v54
	v_dual_add_f32 v54, v76, v75 :: v_dual_mul_f32 v75, 0xbe750f2a, v14
	v_dual_add_f32 v46, v47, v79 :: v_dual_add_f32 v77, v77, v82
	s_delay_alu instid0(VALU_DEP_3)
	v_add_f32_e32 v21, v28, v21
	v_add_f32_e32 v47, v85, v80
	v_fma_f32 v76, 0x3df6dbef, v15, -v41
	v_fma_f32 v28, 0xbf788fa5, v15, -v75
	v_add_f32_e32 v40, v78, v83
	v_fmac_f32_e32 v75, 0xbf788fa5, v15
	s_delay_alu instid0(VALU_DEP_4) | instskip(NEXT) | instid1(VALU_DEP_4)
	v_dual_fmac_f32 v41, 0x3df6dbef, v15 :: v_dual_add_f32 v46, v76, v46
	v_add_f32_e32 v28, v28, v47
	s_delay_alu instid0(VALU_DEP_3) | instskip(NEXT) | instid1(VALU_DEP_3)
	v_dual_mul_f32 v76, 0x3f6f5d39, v14 :: v_dual_add_f32 v47, v75, v56
	v_add_f32_e32 v29, v41, v29
	v_mul_f32_e32 v41, 0x3eedf032, v14
	v_mul_f32_e32 v75, 0xbf52af12, v14
	s_delay_alu instid0(VALU_DEP_4) | instskip(SKIP_3) | instid1(VALU_DEP_4)
	v_fma_f32 v56, 0xbeb58ec6, v15, -v76
	v_mul_f32_e32 v14, 0xbf29c268, v14
	v_add_f32_e32 v74, v74, v84
	v_fma_f32 v78, 0x3f62ad3f, v15, -v41
	v_dual_fmac_f32 v41, 0x3f62ad3f, v15 :: v_dual_add_f32 v56, v56, v57
	v_fmac_f32_e32 v76, 0xbeb58ec6, v15
	s_delay_alu instid0(VALU_DEP_2) | instskip(SKIP_1) | instid1(VALU_DEP_3)
	v_add_f32_e32 v4, v41, v4
	v_mul_f32_e32 v41, 0x3f29c268, v16
	v_add_f32_e32 v57, v76, v73
	v_fma_f32 v73, 0x3f116cb1, v15, -v75
	v_dual_fmac_f32 v75, 0x3f116cb1, v15 :: v_dual_add_f32 v76, v78, v77
	s_delay_alu instid0(VALU_DEP_2) | instskip(SKIP_1) | instid1(VALU_DEP_3)
	v_add_f32_e32 v26, v73, v40
	v_fma_f32 v40, 0xbf3f9e67, v15, -v14
	v_dual_fmac_f32 v14, 0xbf3f9e67, v15 :: v_dual_add_f32 v15, v75, v54
	v_fma_f32 v54, 0xbeb58ec6, v17, -v27
	s_delay_alu instid0(VALU_DEP_3) | instskip(NEXT) | instid1(VALU_DEP_3)
	v_dual_fmac_f32 v27, 0xbeb58ec6, v17 :: v_dual_add_f32 v40, v40, v74
	v_add_f32_e32 v14, v14, v21
	v_fma_f32 v21, 0xbf3f9e67, v17, -v41
	v_fmac_f32_e32 v41, 0xbf3f9e67, v17
	s_delay_alu instid0(VALU_DEP_4) | instskip(NEXT) | instid1(VALU_DEP_2)
	v_dual_add_f32 v27, v27, v29 :: v_dual_add_f32 v46, v54, v46
	v_dual_mul_f32 v54, 0x3eedf032, v16 :: v_dual_add_f32 v29, v41, v47
	v_mul_f32_e32 v47, 0x3e750f2a, v16
	v_add_f32_e32 v21, v21, v28
	v_mul_f32_e32 v28, 0xbf7e222b, v16
	s_delay_alu instid0(VALU_DEP_4) | instskip(SKIP_1) | instid1(VALU_DEP_3)
	v_fma_f32 v41, 0x3f62ad3f, v17, -v54
	v_fmac_f32_e32 v54, 0x3f62ad3f, v17
	v_fma_f32 v73, 0x3df6dbef, v17, -v28
	s_delay_alu instid0(VALU_DEP_1) | instskip(NEXT) | instid1(VALU_DEP_4)
	v_dual_add_f32 v54, v54, v57 :: v_dual_add_f32 v57, v73, v76
	v_add_f32_e32 v41, v41, v56
	v_fma_f32 v56, 0xbf788fa5, v17, -v47
	s_delay_alu instid0(VALU_DEP_1) | instskip(SKIP_1) | instid1(VALU_DEP_2)
	v_dual_fmac_f32 v47, 0xbf788fa5, v17 :: v_dual_add_f32 v16, v56, v26
	v_fma_f32 v26, 0x3f116cb1, v17, -v12
	v_dual_fmac_f32 v12, 0x3f116cb1, v17 :: v_dual_add_f32 v15, v47, v15
	v_fmac_f32_e32 v28, 0x3df6dbef, v17
	v_mul_f32_e32 v17, 0x3f7e222b, v10
	s_delay_alu instid0(VALU_DEP_3) | instskip(NEXT) | instid1(VALU_DEP_2)
	v_add_f32_e32 v12, v12, v14
	v_fma_f32 v14, 0x3df6dbef, v11, -v17
	s_delay_alu instid0(VALU_DEP_1) | instskip(SKIP_3) | instid1(VALU_DEP_4)
	v_dual_fmac_f32 v17, 0x3df6dbef, v11 :: v_dual_add_f32 v14, v14, v21
	v_dual_mul_f32 v21, 0x3e750f2a, v10 :: v_dual_add_f32 v4, v28, v4
	v_fma_f32 v28, 0xbf3f9e67, v11, -v13
	v_dual_fmac_f32 v13, 0xbf3f9e67, v11 :: v_dual_add_f32 v26, v26, v40
	v_dual_mul_f32 v40, 0xbf52af12, v10 :: v_dual_add_f32 v17, v17, v29
	v_mul_f32_e32 v29, 0x3eedf032, v10
	s_delay_alu instid0(VALU_DEP_3) | instskip(NEXT) | instid1(VALU_DEP_3)
	v_dual_add_f32 v13, v13, v27 :: v_dual_mul_f32 v10, 0xbf6f5d39, v10
	v_fma_f32 v27, 0x3f116cb1, v11, -v40
	s_delay_alu instid0(VALU_DEP_2) | instskip(NEXT) | instid1(VALU_DEP_2)
	v_fma_f32 v6, 0xbeb58ec6, v11, -v10
	v_add_f32_e32 v27, v27, v41
	v_fma_f32 v41, 0x3f62ad3f, v11, -v29
	v_fmac_f32_e32 v29, 0x3f62ad3f, v11
	v_fmac_f32_e32 v10, 0xbeb58ec6, v11
	v_add_f32_e32 v28, v28, v46
	v_fma_f32 v46, 0xbf788fa5, v11, -v21
	v_dual_fmac_f32 v21, 0xbf788fa5, v11 :: v_dual_add_f32 v16, v41, v16
	s_delay_alu instid0(VALU_DEP_1)
	v_add_f32_e32 v4, v21, v4
	v_add_f32_e32 v21, v29, v15
	;; [unrolled: 1-line block ×3, first 2 shown]
	v_fma_f32 v6, 0xbf788fa5, v7, -v9
	v_fmac_f32_e32 v9, 0xbf788fa5, v7
	v_mul_f32_e32 v15, 0xbf29c268, v8
	v_fmac_f32_e32 v40, 0x3f116cb1, v11
	v_mul_f32_e32 v11, 0x3eedf032, v8
	v_dual_add_f32 v41, v10, v12 :: v_dual_sub_f32 v26, v24, v42
	v_sub_f32_e32 v24, v22, v44
	v_add_f32_e32 v10, v5, v25
	v_dual_add_f32 v28, v6, v28 :: v_dual_add_f32 v25, v25, v43
	v_dual_add_f32 v6, v9, v13 :: v_dual_sub_f32 v13, v38, v52
	s_delay_alu instid0(VALU_DEP_3) | instskip(SKIP_3) | instid1(VALU_DEP_4)
	v_add_f32_e32 v9, v10, v23
	v_fma_f32 v12, 0x3f62ad3f, v7, -v11
	v_fma_f32 v10, 0xbf3f9e67, v7, -v15
	v_dual_add_f32 v46, v46, v57 :: v_dual_fmac_f32 v15, 0xbf3f9e67, v7
	v_add_f32_e32 v9, v9, v19
	s_delay_alu instid0(VALU_DEP_3) | instskip(SKIP_2) | instid1(VALU_DEP_4)
	v_dual_add_f32 v47, v12, v14 :: v_dual_add_f32 v56, v10, v27
	v_mul_f32_e32 v27, 0xbeedf032, v26
	v_dual_add_f32 v40, v40, v54 :: v_dual_fmac_f32 v11, 0x3f62ad3f, v7
	v_dual_add_f32 v9, v9, v39 :: v_dual_add_f32 v22, v23, v45
	v_mul_f32_e32 v23, 0xbf52af12, v24
	s_delay_alu instid0(VALU_DEP_2) | instskip(SKIP_1) | instid1(VALU_DEP_2)
	v_dual_add_f32 v9, v9, v37 :: v_dual_mul_f32 v12, 0x3f52af12, v8
	v_mul_f32_e32 v44, 0xbf6f5d39, v8
	v_fma_f32 v10, 0x3f116cb1, v7, -v12
	v_fmac_f32_e32 v12, 0x3f116cb1, v7
	s_delay_alu instid0(VALU_DEP_2) | instskip(NEXT) | instid1(VALU_DEP_2)
	v_add_f32_e32 v42, v10, v46
	v_add_f32_e32 v46, v12, v4
	;; [unrolled: 1-line block ×3, first 2 shown]
	v_fma_f32 v9, 0x3f62ad3f, v25, -v27
	v_fma_f32 v10, 0xbeb58ec6, v7, -v44
	v_add_f32_e32 v12, v39, v53
	s_delay_alu instid0(VALU_DEP_3) | instskip(SKIP_2) | instid1(VALU_DEP_1)
	v_dual_fmac_f32 v44, 0xbeb58ec6, v7 :: v_dual_add_f32 v9, v5, v9
	v_dual_add_f32 v54, v11, v17 :: v_dual_sub_f32 v17, v18, v48
	v_fma_f32 v11, 0x3f116cb1, v22, -v23
	v_dual_mul_f32 v18, 0xbf6f5d39, v13 :: v_dual_add_f32 v9, v9, v11
	v_add_f32_e32 v40, v15, v40
	v_add_f32_e32 v15, v19, v49
	v_dual_mul_f32 v19, 0xbf7e222b, v17 :: v_dual_add_f32 v48, v10, v16
	v_sub_f32_e32 v10, v36, v50
	v_fma_f32 v16, 0xbeb58ec6, v12, -v18
	v_mul_f32_e32 v36, 0x3f7e222b, v8
	s_delay_alu instid0(VALU_DEP_4) | instskip(SKIP_1) | instid1(VALU_DEP_2)
	v_fma_f32 v11, 0x3df6dbef, v15, -v19
	v_sub_f32_e32 v8, v30, v34
	v_dual_mul_f32 v14, 0xbf29c268, v10 :: v_dual_add_f32 v11, v9, v11
	s_delay_alu instid0(VALU_DEP_1) | instskip(NEXT) | instid1(VALU_DEP_1)
	v_dual_add_f32 v9, v37, v51 :: v_dual_add_f32 v16, v11, v16
	v_fma_f32 v34, 0xbf3f9e67, v9, -v14
	s_delay_alu instid0(VALU_DEP_1) | instskip(SKIP_2) | instid1(VALU_DEP_1)
	v_dual_mul_f32 v11, 0xbe750f2a, v8 :: v_dual_add_f32 v16, v16, v34
	v_dual_add_f32 v34, v44, v21 :: v_dual_add_nc_u32 v21, 39, v0
	v_add_f32_e32 v4, v4, v35
	v_add_f32_e32 v4, v51, v4
	s_delay_alu instid0(VALU_DEP_1) | instskip(NEXT) | instid1(VALU_DEP_1)
	v_add_f32_e32 v4, v53, v4
	v_add_f32_e32 v30, v49, v4
	;; [unrolled: 1-line block ×3, first 2 shown]
	v_fma_f32 v31, 0x3df6dbef, v7, -v36
	s_delay_alu instid0(VALU_DEP_3) | instskip(NEXT) | instid1(VALU_DEP_3)
	v_dual_fmac_f32 v36, 0x3df6dbef, v7 :: v_dual_add_f32 v7, v45, v30
	v_fma_f32 v30, 0xbf788fa5, v4, -v11
	s_delay_alu instid0(VALU_DEP_3) | instskip(NEXT) | instid1(VALU_DEP_3)
	v_add_f32_e32 v29, v31, v29
	v_add_f32_e32 v31, v36, v41
	ds_store_2addr_b32 v72, v55, v28 offset1:1
	ds_store_2addr_b32 v72, v47, v56 offset0:2 offset1:3
	ds_store_2addr_b32 v72, v42, v48 offset0:4 offset1:5
	;; [unrolled: 1-line block ×5, first 2 shown]
	ds_store_b32 v72, v6 offset:48
	v_dual_add_f32 v7, v43, v7 :: v_dual_add_f32 v16, v16, v30
	s_and_saveexec_b32 s2, s1
	s_cbranch_execz .LBB0_18
; %bb.17:
	v_mul_f32_e32 v28, 0x3f62ad3f, v25
	v_mul_f32_e32 v30, 0xbf52af12, v26
	;; [unrolled: 1-line block ×3, first 2 shown]
	s_delay_alu instid0(VALU_DEP_3) | instskip(SKIP_1) | instid1(VALU_DEP_4)
	v_add_f32_e32 v27, v28, v27
	v_mul_f32_e32 v29, 0x3f116cb1, v22
	v_fma_f32 v35, 0x3f116cb1, v25, -v30
	v_fmac_f32_e32 v30, 0x3f116cb1, v25
	v_mul_f32_e32 v40, 0xbf29c268, v26
	v_fma_f32 v41, 0xbeb58ec6, v25, -v39
	v_dual_add_f32 v23, v29, v23 :: v_dual_mul_f32 v36, 0xbf7e222b, v26
	v_mul_f32_e32 v26, 0xbe750f2a, v26
	s_delay_alu instid0(VALU_DEP_4) | instskip(NEXT) | instid1(VALU_DEP_4)
	v_fma_f32 v42, 0xbf3f9e67, v25, -v40
	v_add_f32_e32 v41, v5, v41
	v_mul_f32_e32 v31, 0x3df6dbef, v15
	v_fma_f32 v38, 0x3df6dbef, v25, -v36
	v_fmac_f32_e32 v36, 0x3df6dbef, v25
	v_fma_f32 v43, 0xbf788fa5, v25, -v26
	v_add_f32_e32 v27, v5, v27
	v_add_f32_e32 v42, v5, v42
	v_mul_f32_e32 v44, 0xbf6f5d39, v24
	v_add_f32_e32 v36, v5, v36
	v_dual_add_f32 v38, v5, v38 :: v_dual_fmac_f32 v39, 0xbeb58ec6, v25
	v_fmac_f32_e32 v26, 0xbf788fa5, v25
	v_dual_fmac_f32 v40, 0xbf3f9e67, v25 :: v_dual_add_f32 v25, v5, v43
	v_mul_f32_e32 v43, 0xbe750f2a, v24
	v_dual_mul_f32 v34, 0xbeb58ec6, v12 :: v_dual_add_f32 v35, v5, v35
	v_add_f32_e32 v23, v27, v23
	v_fma_f32 v29, 0xbeb58ec6, v22, -v44
	s_delay_alu instid0(VALU_DEP_4) | instskip(SKIP_3) | instid1(VALU_DEP_4)
	v_fma_f32 v27, 0xbf788fa5, v22, -v43
	v_dual_mul_f32 v28, 0xbf3f9e67, v9 :: v_dual_add_f32 v39, v5, v39
	v_dual_mul_f32 v37, 0xbf788fa5, v4 :: v_dual_add_f32 v30, v5, v30
	v_dual_add_f32 v40, v5, v40 :: v_dual_fmac_f32 v43, 0xbf788fa5, v22
	v_add_f32_e32 v27, v38, v27
	v_dual_add_f32 v5, v5, v26 :: v_dual_add_f32 v26, v35, v29
	v_mul_f32_e32 v29, 0x3f29c268, v24
	s_delay_alu instid0(VALU_DEP_4) | instskip(SKIP_1) | instid1(VALU_DEP_3)
	v_dual_mul_f32 v35, 0x3f7e222b, v24 :: v_dual_add_f32 v36, v36, v43
	v_add_f32_e32 v19, v31, v19
	v_fma_f32 v38, 0xbf3f9e67, v22, -v29
	s_delay_alu instid0(VALU_DEP_3) | instskip(SKIP_2) | instid1(VALU_DEP_4)
	v_fma_f32 v43, 0x3df6dbef, v22, -v35
	v_mul_f32_e32 v24, 0x3eedf032, v24
	v_fmac_f32_e32 v35, 0x3df6dbef, v22
	v_dual_add_f32 v19, v23, v19 :: v_dual_add_f32 v38, v41, v38
	s_delay_alu instid0(VALU_DEP_3) | instskip(NEXT) | instid1(VALU_DEP_3)
	v_fma_f32 v41, 0x3f62ad3f, v22, -v24
	v_add_f32_e32 v35, v40, v35
	v_fmac_f32_e32 v29, 0xbf3f9e67, v22
	s_delay_alu instid0(VALU_DEP_1) | instskip(SKIP_2) | instid1(VALU_DEP_3)
	v_dual_fmac_f32 v44, 0xbeb58ec6, v22 :: v_dual_add_f32 v29, v39, v29
	v_dual_add_f32 v39, v42, v43 :: v_dual_mul_f32 v42, 0xbe750f2a, v17
	v_fmac_f32_e32 v24, 0x3f62ad3f, v22
	v_add_f32_e32 v30, v30, v44
	v_add_f32_e32 v22, v25, v41
	s_delay_alu instid0(VALU_DEP_4) | instskip(NEXT) | instid1(VALU_DEP_4)
	v_fma_f32 v25, 0xbf788fa5, v15, -v42
	v_dual_add_f32 v5, v5, v24 :: v_dual_fmac_f32 v42, 0xbf788fa5, v15
	v_mul_f32_e32 v31, 0x3f6f5d39, v17
	s_delay_alu instid0(VALU_DEP_3) | instskip(NEXT) | instid1(VALU_DEP_3)
	v_add_f32_e32 v23, v26, v25
	v_add_f32_e32 v26, v30, v42
	s_delay_alu instid0(VALU_DEP_3) | instskip(SKIP_2) | instid1(VALU_DEP_2)
	v_fma_f32 v24, 0xbeb58ec6, v15, -v31
	v_fmac_f32_e32 v31, 0xbeb58ec6, v15
	v_mul_f32_e32 v30, 0xbf52af12, v17
	v_dual_add_f32 v24, v27, v24 :: v_dual_add_f32 v31, v36, v31
	s_delay_alu instid0(VALU_DEP_2) | instskip(SKIP_1) | instid1(VALU_DEP_1)
	v_fma_f32 v36, 0x3f116cb1, v15, -v30
	v_fmac_f32_e32 v30, 0x3f116cb1, v15
	v_dual_mul_f32 v25, 0x3eedf032, v17 :: v_dual_add_f32 v30, v35, v30
	s_delay_alu instid0(VALU_DEP_1) | instskip(SKIP_1) | instid1(VALU_DEP_2)
	v_fma_f32 v27, 0x3f62ad3f, v15, -v25
	v_fmac_f32_e32 v25, 0x3f62ad3f, v15
	v_dual_add_f32 v27, v38, v27 :: v_dual_mul_f32 v38, 0x3f29c268, v13
	v_mul_f32_e32 v17, 0xbf29c268, v17
	s_delay_alu instid0(VALU_DEP_3) | instskip(SKIP_1) | instid1(VALU_DEP_3)
	v_add_f32_e32 v25, v29, v25
	v_add_f32_e32 v29, v39, v36
	v_fma_f32 v36, 0xbf3f9e67, v15, -v17
	v_fmac_f32_e32 v17, 0xbf3f9e67, v15
	v_dual_add_f32 v15, v34, v18 :: v_dual_mul_f32 v34, 0x3eedf032, v13
	s_delay_alu instid0(VALU_DEP_3) | instskip(SKIP_1) | instid1(VALU_DEP_4)
	v_add_f32_e32 v18, v22, v36
	v_fma_f32 v22, 0xbf3f9e67, v12, -v38
	v_dual_fmac_f32 v38, 0xbf3f9e67, v12 :: v_dual_add_f32 v5, v5, v17
	s_delay_alu instid0(VALU_DEP_2) | instskip(SKIP_2) | instid1(VALU_DEP_4)
	v_dual_add_f32 v17, v23, v22 :: v_dual_mul_f32 v22, 0xbf7e222b, v13
	v_add_f32_e32 v15, v19, v15
	v_fma_f32 v19, 0x3f62ad3f, v12, -v34
	v_dual_fmac_f32 v34, 0x3f62ad3f, v12 :: v_dual_add_f32 v23, v26, v38
	v_mul_f32_e32 v26, 0x3e750f2a, v13
	v_mul_f32_e32 v13, 0x3f52af12, v13
	s_delay_alu instid0(VALU_DEP_4) | instskip(SKIP_2) | instid1(VALU_DEP_2)
	v_add_f32_e32 v19, v24, v19
	v_fma_f32 v24, 0x3df6dbef, v12, -v22
	v_fmac_f32_e32 v22, 0x3df6dbef, v12
	v_add_f32_e32 v24, v27, v24
	s_delay_alu instid0(VALU_DEP_2) | instskip(SKIP_4) | instid1(VALU_DEP_1)
	v_add_f32_e32 v22, v25, v22
	v_fma_f32 v27, 0x3f116cb1, v12, -v13
	v_add_f32_e32 v31, v31, v34
	v_fma_f32 v34, 0xbf788fa5, v12, -v26
	v_fmac_f32_e32 v26, 0xbf788fa5, v12
	v_dual_add_f32 v26, v30, v26 :: v_dual_fmac_f32 v13, 0x3f116cb1, v12
	v_add_f32_e32 v12, v28, v14
	s_delay_alu instid0(VALU_DEP_2) | instskip(NEXT) | instid1(VALU_DEP_2)
	v_dual_add_f32 v14, v18, v27 :: v_dual_add_f32 v5, v5, v13
	v_dual_add_f32 v12, v15, v12 :: v_dual_add_f32 v25, v29, v34
	v_mul_f32_e32 v29, 0x3f7e222b, v10
	v_mul_f32_e32 v27, 0xbf52af12, v10
	s_delay_alu instid0(VALU_DEP_2) | instskip(NEXT) | instid1(VALU_DEP_2)
	v_fma_f32 v18, 0x3df6dbef, v9, -v29
	v_fma_f32 v15, 0x3f116cb1, v9, -v27
	s_delay_alu instid0(VALU_DEP_2) | instskip(SKIP_1) | instid1(VALU_DEP_3)
	v_add_f32_e32 v13, v17, v18
	v_mul_f32_e32 v17, 0x3e750f2a, v10
	v_add_f32_e32 v15, v19, v15
	v_fmac_f32_e32 v27, 0x3f116cb1, v9
	s_delay_alu instid0(VALU_DEP_1) | instskip(NEXT) | instid1(VALU_DEP_4)
	v_add_f32_e32 v19, v31, v27
	v_fma_f32 v27, 0xbf788fa5, v9, -v17
	s_delay_alu instid0(VALU_DEP_1) | instskip(NEXT) | instid1(VALU_DEP_1)
	v_dual_add_f32 v24, v24, v27 :: v_dual_fmac_f32 v29, 0x3df6dbef, v9
	v_dual_add_f32 v18, v23, v29 :: v_dual_mul_f32 v23, 0x3eedf032, v10
	v_mul_f32_e32 v10, 0xbf6f5d39, v10
	s_delay_alu instid0(VALU_DEP_2) | instskip(SKIP_1) | instid1(VALU_DEP_1)
	v_fma_f32 v28, 0x3f62ad3f, v9, -v23
	v_fmac_f32_e32 v23, 0x3f62ad3f, v9
	v_add_f32_e32 v23, v26, v23
	v_fmac_f32_e32 v17, 0xbf788fa5, v9
	s_delay_alu instid0(VALU_DEP_1) | instskip(SKIP_3) | instid1(VALU_DEP_2)
	v_dual_mul_f32 v26, 0x3f52af12, v8 :: v_dual_add_f32 v17, v22, v17
	v_add_f32_e32 v22, v25, v28
	v_fma_f32 v25, 0xbeb58ec6, v9, -v10
	v_fmac_f32_e32 v10, 0xbeb58ec6, v9
	v_dual_mul_f32 v9, 0x3eedf032, v8 :: v_dual_add_f32 v14, v14, v25
	s_delay_alu instid0(VALU_DEP_2) | instskip(NEXT) | instid1(VALU_DEP_2)
	v_add_f32_e32 v5, v5, v10
	v_fma_f32 v10, 0x3f62ad3f, v4, -v9
	v_fmac_f32_e32 v9, 0x3f62ad3f, v4
	s_delay_alu instid0(VALU_DEP_2) | instskip(NEXT) | instid1(VALU_DEP_2)
	v_dual_mul_f32 v25, 0xbf29c268, v8 :: v_dual_add_f32 v10, v13, v10
	v_dual_add_f32 v9, v18, v9 :: v_dual_mul_f32 v18, 0xbf6f5d39, v8
	v_dual_mul_f32 v8, 0x3f7e222b, v8 :: v_dual_add_f32 v11, v37, v11
	v_fma_f32 v13, 0x3f116cb1, v4, -v26
	s_delay_alu instid0(VALU_DEP_2) | instskip(SKIP_2) | instid1(VALU_DEP_4)
	v_dual_fmac_f32 v26, 0x3f116cb1, v4 :: v_dual_add_f32 v11, v12, v11
	v_fma_f32 v12, 0xbf3f9e67, v4, -v25
	v_fmac_f32_e32 v25, 0xbf3f9e67, v4
	v_add_f32_e32 v13, v24, v13
	v_fma_f32 v24, 0xbeb58ec6, v4, -v18
	v_fmac_f32_e32 v18, 0xbeb58ec6, v4
	v_add_f32_e32 v12, v15, v12
	v_add_f32_e32 v15, v19, v25
	v_mul_u32_u24_e32 v19, 52, v21
	v_fma_f32 v25, 0x3df6dbef, v4, -v8
	v_dual_fmac_f32 v8, 0x3df6dbef, v4 :: v_dual_add_f32 v17, v17, v26
	s_delay_alu instid0(VALU_DEP_3) | instskip(SKIP_1) | instid1(VALU_DEP_3)
	v_add3_u32 v4, 0, v19, v69
	v_add_f32_e32 v19, v22, v24
	v_dual_add_f32 v14, v14, v25 :: v_dual_add_f32 v5, v5, v8
	v_add_f32_e32 v8, v23, v18
	ds_store_2addr_b32 v4, v7, v16 offset1:1
	ds_store_2addr_b32 v4, v10, v12 offset0:2 offset1:3
	ds_store_2addr_b32 v4, v13, v19 offset0:4 offset1:5
	;; [unrolled: 1-line block ×5, first 2 shown]
	ds_store_b32 v4, v11 offset:48
.LBB0_18:
	s_or_b32 exec_lo, exec_lo, s2
	v_add_nc_u32_e32 v12, 0x400, v20
	v_add_nc_u32_e32 v18, 0x200, v20
	s_waitcnt lgkmcnt(0)
	s_barrier
	buffer_gl0_inv
	ds_load_2addr_b32 v[8:9], v20 offset0:117 offset1:182
	ds_load_2addr_b32 v[4:5], v12 offset0:43 offset1:108
	ds_load_2addr_b32 v[10:11], v20 offset0:39 offset1:78
	ds_load_2addr_b32 v[14:15], v18 offset0:93 offset1:132
	ds_load_2addr_b32 v[12:13], v12 offset0:147 offset1:186
	ds_load_b32 v25, v68
	ds_load_b32 v17, v20 offset:1924
	s_and_saveexec_b32 s1, s0
	s_cbranch_execz .LBB0_20
; %bb.19:
	ds_load_2addr_b32 v[6:7], v18 offset0:28 offset1:210
	ds_load_b32 v16, v20 offset:2080
.LBB0_20:
	s_or_b32 exec_lo, exec_lo, s1
	v_and_b32_e32 v18, 0xff, v0
	s_delay_alu instid0(VALU_DEP_1) | instskip(NEXT) | instid1(VALU_DEP_1)
	v_mul_lo_u16 v18, 0x4f, v18
	v_lshrrev_b16 v18, 10, v18
	s_delay_alu instid0(VALU_DEP_1) | instskip(NEXT) | instid1(VALU_DEP_1)
	v_mul_lo_u16 v26, v18, 13
	v_sub_nc_u16 v26, v0, v26
	s_delay_alu instid0(VALU_DEP_1) | instskip(NEXT) | instid1(VALU_DEP_1)
	v_and_b32_e32 v26, 0xff, v26
	v_lshlrev_b32_e32 v31, 4, v26
	global_load_b128 v[35:38], v31, s[4:5]
	v_and_b32_e32 v19, 0xff, v21
	s_delay_alu instid0(VALU_DEP_1) | instskip(NEXT) | instid1(VALU_DEP_1)
	v_mul_lo_u16 v19, 0x4f, v19
	v_lshrrev_b16 v19, 10, v19
	s_delay_alu instid0(VALU_DEP_1) | instskip(SKIP_1) | instid1(VALU_DEP_2)
	v_mul_lo_u16 v29, v19, 13
	v_and_b32_e32 v19, 0xffff, v19
	v_sub_nc_u16 v29, v21, v29
	s_delay_alu instid0(VALU_DEP_2) | instskip(NEXT) | instid1(VALU_DEP_2)
	v_mad_u32_u24 v19, 0x9c, v19, 0
	v_and_b32_e32 v29, 0xff, v29
	s_delay_alu instid0(VALU_DEP_1)
	v_lshlrev_b32_e32 v39, 4, v29
	global_load_b128 v[39:42], v39, s[4:5]
	v_add_nc_u32_e32 v22, 0x75, v0
	v_add_nc_u32_e32 v23, 0x4e, v0
	v_lshlrev_b32_e32 v29, 2, v29
	v_add_nc_u32_e32 v24, 0x9c, v0
	s_delay_alu instid0(VALU_DEP_4) | instskip(NEXT) | instid1(VALU_DEP_3)
	v_and_b32_e32 v28, 0xff, v22
	v_add3_u32 v29, v19, v29, v69
	s_delay_alu instid0(VALU_DEP_3) | instskip(NEXT) | instid1(VALU_DEP_3)
	v_and_b32_e32 v30, 0xff, v24
	v_mul_lo_u16 v28, 0x4f, v28
	s_delay_alu instid0(VALU_DEP_2) | instskip(NEXT) | instid1(VALU_DEP_2)
	v_mul_lo_u16 v30, 0x4f, v30
	v_lshrrev_b16 v28, 10, v28
	s_delay_alu instid0(VALU_DEP_2) | instskip(NEXT) | instid1(VALU_DEP_2)
	v_lshrrev_b16 v30, 10, v30
	v_mul_lo_u16 v43, v28, 13
	s_delay_alu instid0(VALU_DEP_1) | instskip(NEXT) | instid1(VALU_DEP_1)
	v_sub_nc_u16 v43, v22, v43
	v_and_b32_e32 v43, 0xff, v43
	s_delay_alu instid0(VALU_DEP_1) | instskip(SKIP_4) | instid1(VALU_DEP_2)
	v_lshlrev_b32_e32 v49, 4, v43
	v_lshlrev_b32_e32 v19, 2, v43
	s_waitcnt vmcnt(1) lgkmcnt(5)
	v_mul_f32_e32 v43, v5, v38
	v_dual_mul_f32 v38, v63, v38 :: v_dual_and_b32 v27, 0xff, v23
	v_fmac_f32_e32 v43, v63, v37
	s_delay_alu instid0(VALU_DEP_2) | instskip(NEXT) | instid1(VALU_DEP_1)
	v_mul_lo_u16 v27, 0x4f, v27
	v_lshrrev_b16 v27, 10, v27
	s_delay_alu instid0(VALU_DEP_1) | instskip(NEXT) | instid1(VALU_DEP_1)
	v_mul_lo_u16 v34, v27, 13
	v_sub_nc_u16 v31, v23, v34
	v_mul_lo_u16 v34, v30, 13
	s_delay_alu instid0(VALU_DEP_2) | instskip(NEXT) | instid1(VALU_DEP_2)
	v_and_b32_e32 v31, 0xff, v31
	v_sub_nc_u16 v34, v24, v34
	s_delay_alu instid0(VALU_DEP_2) | instskip(NEXT) | instid1(VALU_DEP_2)
	v_lshlrev_b32_e32 v44, 4, v31
	v_and_b32_e32 v34, 0xff, v34
	global_load_b128 v[45:48], v44, s[4:5]
	v_lshlrev_b32_e32 v44, 4, v34
	s_clause 0x1
	global_load_b128 v[49:52], v49, s[4:5]
	global_load_b128 v[53:56], v44, s[4:5]
	v_and_b32_e32 v18, 0xffff, v18
	v_and_b32_e32 v28, 0xffff, v28
	;; [unrolled: 1-line block ×3, first 2 shown]
	v_lshlrev_b32_e32 v26, 2, v26
	v_and_b32_e32 v27, 0xffff, v30
	v_mad_u32_u24 v18, 0x9c, v18, 0
	v_mad_u32_u24 v57, 0x9c, v28, 0
	v_lshlrev_b32_e32 v28, 2, v34
	s_waitcnt vmcnt(0) lgkmcnt(0)
	s_barrier
	v_add3_u32 v30, v18, v26, v69
	v_lshlrev_b32_e32 v18, 2, v31
	v_add3_u32 v31, v57, v19, v69
	v_mul_f32_e32 v19, v12, v42
	v_mul_f32_e32 v57, v64, v42
	v_fma_f32 v42, v5, v37, -v38
	v_mul_f32_e32 v26, v9, v36
	s_delay_alu instid0(VALU_DEP_4) | instskip(NEXT) | instid1(VALU_DEP_4)
	v_dual_mul_f32 v36, v59, v36 :: v_dual_fmac_f32 v19, v64, v41
	v_fma_f32 v12, v12, v41, -v57
	buffer_gl0_inv
	v_fmac_f32_e32 v26, v59, v35
	v_mul_f32_e32 v37, v67, v46
	v_mad_u32_u24 v44, 0x9c, v44, 0
	v_mul_f32_e32 v5, v15, v46
	v_mul_f32_e32 v38, v4, v50
	;; [unrolled: 1-line block ×3, first 2 shown]
	s_delay_alu instid0(VALU_DEP_4) | instskip(SKIP_4) | instid1(VALU_DEP_4)
	v_add3_u32 v34, v44, v18, v69
	v_mul_f32_e32 v18, v14, v40
	v_mul_f32_e32 v40, v66, v40
	v_fma_f32 v44, v9, v35, -v36
	v_mul_f32_e32 v35, v7, v54
	v_dual_mul_f32 v9, v13, v48 :: v_dual_fmac_f32 v18, v66, v39
	s_delay_alu instid0(VALU_DEP_4)
	v_fma_f32 v14, v14, v39, -v40
	v_mul_f32_e32 v40, v65, v48
	v_mul_f32_e32 v46, v71, v52
	;; [unrolled: 1-line block ×5, first 2 shown]
	v_dual_mul_f32 v36, v16, v56 :: v_dual_fmac_f32 v5, v67, v45
	v_fma_f32 v15, v15, v45, -v37
	v_fmac_f32_e32 v9, v65, v47
	v_fma_f32 v4, v4, v49, -v41
	v_fma_f32 v41, v17, v51, -v46
	v_fmac_f32_e32 v35, v33, v53
	v_fma_f32 v37, v7, v53, -v48
	v_fma_f32 v33, v16, v55, -v50
	v_dual_add_f32 v7, v26, v43 :: v_dual_add_f32 v16, v60, v18
	v_dual_add_f32 v17, v18, v19 :: v_dual_add_f32 v46, v5, v9
	v_dual_fmac_f32 v38, v62, v49 :: v_dual_fmac_f32 v39, v71, v51
	v_fma_f32 v40, v13, v47, -v40
	v_dual_sub_f32 v13, v44, v42 :: v_dual_fmac_f32 v36, v1, v55
	v_add_f32_e32 v1, v70, v26
	v_dual_sub_f32 v45, v14, v12 :: v_dual_fmac_f32 v70, -0.5, v7
	v_add_f32_e32 v7, v16, v19
	v_fma_f32 v16, -0.5, v17, v60
	v_add_f32_e32 v49, v38, v39
	v_dual_sub_f32 v47, v15, v40 :: v_dual_sub_f32 v50, v4, v41
	v_add_f32_e32 v17, v61, v5
	v_fmamk_f32 v51, v13, 0xbf5db3d7, v70
	v_fmac_f32_e32 v70, 0x3f5db3d7, v13
	v_fmamk_f32 v13, v45, 0xbf5db3d7, v16
	v_dual_fmac_f32 v16, 0x3f5db3d7, v45 :: v_dual_fmac_f32 v61, -0.5, v46
	v_dual_add_f32 v1, v1, v43 :: v_dual_add_f32 v48, v58, v38
	v_fmac_f32_e32 v58, -0.5, v49
	s_delay_alu instid0(VALU_DEP_3) | instskip(NEXT) | instid1(VALU_DEP_3)
	v_dual_fmamk_f32 v46, v47, 0xbf5db3d7, v61 :: v_dual_add_f32 v17, v17, v9
	v_add_f32_e32 v45, v48, v39
	v_fmac_f32_e32 v61, 0x3f5db3d7, v47
	s_delay_alu instid0(VALU_DEP_4)
	v_fmamk_f32 v47, v50, 0xbf5db3d7, v58
	v_fmac_f32_e32 v58, 0x3f5db3d7, v50
	ds_store_2addr_b32 v30, v1, v51 offset1:13
	ds_store_b32 v30, v70 offset:104
	ds_store_2addr_b32 v29, v7, v13 offset1:13
	ds_store_b32 v29, v16 offset:104
	;; [unrolled: 2-line block ×4, first 2 shown]
	s_and_saveexec_b32 s1, s0
	s_cbranch_execz .LBB0_22
; %bb.21:
	v_add_f32_e32 v1, v35, v36
	v_sub_f32_e32 v7, v37, v33
	v_add_f32_e32 v13, v32, v35
	v_mad_u32_u24 v16, 0x9c, v27, 0
	s_delay_alu instid0(VALU_DEP_4) | instskip(NEXT) | instid1(VALU_DEP_3)
	v_fma_f32 v1, -0.5, v1, v32
	v_add_f32_e32 v13, v13, v36
	s_delay_alu instid0(VALU_DEP_3) | instskip(NEXT) | instid1(VALU_DEP_3)
	v_add3_u32 v16, v16, v28, v69
	v_fmamk_f32 v17, v7, 0x3f5db3d7, v1
	v_fmac_f32_e32 v1, 0xbf5db3d7, v7
	ds_store_2addr_b32 v16, v13, v1 offset1:13
	ds_store_b32 v16, v17 offset:104
.LBB0_22:
	s_or_b32 exec_lo, exec_lo, s1
	v_dual_add_f32 v1, v44, v42 :: v_dual_add_f32 v16, v14, v12
	v_add_f32_e32 v7, v25, v44
	v_dual_sub_f32 v47, v5, v9 :: v_dual_sub_f32 v38, v38, v39
	s_delay_alu instid0(VALU_DEP_3)
	v_fmac_f32_e32 v25, -0.5, v1
	v_dual_add_f32 v1, v10, v14 :: v_dual_add_f32 v46, v11, v15
	v_sub_f32_e32 v14, v18, v19
	v_dual_sub_f32 v13, v26, v43 :: v_dual_add_f32 v32, v7, v42
	v_add_f32_e32 v49, v4, v41
	v_fma_f32 v42, -0.5, v16, v10
	v_add_f32_e32 v7, v15, v40
	v_add_f32_e32 v44, v1, v12
	v_dual_fmamk_f32 v43, v13, 0x3f5db3d7, v25 :: v_dual_add_f32 v48, v8, v4
	v_dual_fmac_f32 v8, -0.5, v49 :: v_dual_add_nc_u32 v1, 0x400, v20
	v_fmac_f32_e32 v25, 0xbf5db3d7, v13
	v_fmac_f32_e32 v11, -0.5, v7
	s_waitcnt lgkmcnt(0)
	s_barrier
	buffer_gl0_inv
	v_add_f32_e32 v39, v46, v40
	v_fmamk_f32 v46, v38, 0x3f5db3d7, v8
	v_dual_fmamk_f32 v45, v14, 0x3f5db3d7, v42 :: v_dual_fmamk_f32 v40, v47, 0x3f5db3d7, v11
	v_fmac_f32_e32 v42, 0xbf5db3d7, v14
	ds_load_2addr_b32 v[4:5], v20 offset0:39 offset1:78
	ds_load_2addr_b32 v[18:19], v20 offset0:117 offset1:156
	;; [unrolled: 1-line block ×6, first 2 shown]
	ds_load_b32 v7, v68
	ds_load_b32 v26, v20 offset:2028
	v_fmac_f32_e32 v11, 0xbf5db3d7, v47
	v_dual_add_f32 v41, v48, v41 :: v_dual_fmac_f32 v8, 0xbf5db3d7, v38
	s_waitcnt lgkmcnt(0)
	s_barrier
	buffer_gl0_inv
	ds_store_2addr_b32 v30, v32, v43 offset1:13
	ds_store_b32 v30, v25 offset:104
	ds_store_2addr_b32 v29, v44, v45 offset1:13
	ds_store_b32 v29, v42 offset:104
	;; [unrolled: 2-line block ×4, first 2 shown]
	s_and_saveexec_b32 s1, s0
	s_cbranch_execz .LBB0_24
; %bb.23:
	v_dual_add_f32 v8, v37, v33 :: v_dual_sub_f32 v25, v35, v36
	v_add_f32_e32 v11, v6, v37
	v_mad_u32_u24 v27, 0x9c, v27, 0
	s_delay_alu instid0(VALU_DEP_3) | instskip(NEXT) | instid1(VALU_DEP_3)
	v_fmac_f32_e32 v6, -0.5, v8
	v_add_f32_e32 v8, v11, v33
	s_delay_alu instid0(VALU_DEP_3) | instskip(NEXT) | instid1(VALU_DEP_3)
	v_add3_u32 v11, v27, v28, v69
	v_fmamk_f32 v27, v25, 0x3f5db3d7, v6
	v_fmamk_f32 v6, v25, 0xbf5db3d7, v6
	ds_store_2addr_b32 v11, v8, v27 offset1:13
	ds_store_b32 v11, v6 offset:104
.LBB0_24:
	s_or_b32 exec_lo, exec_lo, s1
	v_mul_u32_u24_e32 v6, 6, v0
	s_waitcnt lgkmcnt(0)
	s_barrier
	buffer_gl0_inv
	v_lshlrev_b32_e32 v6, 3, v6
	s_clause 0x2
	global_load_b128 v[27:30], v6, s[4:5] offset:208
	global_load_b128 v[31:34], v6, s[4:5] offset:224
	;; [unrolled: 1-line block ×3, first 2 shown]
	ds_load_2addr_b32 v[39:40], v20 offset0:39 offset1:78
	ds_load_2addr_b32 v[41:42], v20 offset0:117 offset1:156
	;; [unrolled: 1-line block ×6, first 2 shown]
	ds_load_b32 v6, v68
	ds_load_b32 v8, v20 offset:2028
	v_add_nc_u32_e32 v25, 0x200, v20
	s_waitcnt vmcnt(0) lgkmcnt(0)
	s_barrier
	buffer_gl0_inv
	v_dual_mul_f32 v52, v42, v30 :: v_dual_mul_f32 v11, v40, v28
	v_dual_mul_f32 v51, v5, v28 :: v_dual_mul_f32 v56, v46, v34
	v_dual_mul_f32 v53, v19, v30 :: v_dual_mul_f32 v54, v44, v32
	v_dual_mul_f32 v55, v17, v32 :: v_dual_mul_f32 v60, v50, v38
	v_dual_mul_f32 v57, v15, v34 :: v_dual_mul_f32 v58, v48, v36
	v_mul_f32_e32 v59, v13, v36
	v_dual_mul_f32 v61, v10, v38 :: v_dual_mul_f32 v62, v41, v28
	v_dual_mul_f32 v28, v18, v28 :: v_dual_mul_f32 v63, v43, v30
	v_mul_f32_e32 v30, v16, v30
	v_dual_mul_f32 v64, v45, v32 :: v_dual_mul_f32 v65, v47, v34
	v_dual_mul_f32 v32, v14, v32 :: v_dual_mul_f32 v67, v8, v38
	v_dual_mul_f32 v34, v12, v34 :: v_dual_fmac_f32 v11, v5, v27
	v_dual_mul_f32 v66, v49, v36 :: v_dual_fmac_f32 v63, v16, v29
	v_fma_f32 v5, v40, v27, -v51
	s_delay_alu instid0(VALU_DEP_4)
	v_dual_fmac_f32 v54, v17, v31 :: v_dual_fmac_f32 v67, v26, v37
	v_fma_f32 v17, v44, v31, -v55
	v_fmac_f32_e32 v60, v10, v37
	v_fma_f32 v10, v50, v37, -v61
	v_fmac_f32_e32 v52, v19, v29
	;; [unrolled: 2-line block ×4, first 2 shown]
	v_fma_f32 v13, v48, v35, -v59
	v_dual_mul_f32 v36, v9, v36 :: v_dual_fmac_f32 v65, v12, v33
	v_fmac_f32_e32 v62, v18, v27
	v_fma_f32 v18, v41, v27, -v28
	v_fma_f32 v16, v43, v29, -v30
	v_dual_fmac_f32 v64, v14, v31 :: v_dual_add_f32 v27, v5, v10
	v_sub_f32_e32 v5, v5, v10
	v_fmac_f32_e32 v66, v9, v35
	v_dual_add_f32 v30, v17, v15 :: v_dual_sub_f32 v15, v15, v17
	v_add_f32_e32 v28, v19, v13
	v_sub_f32_e32 v13, v19, v13
	v_sub_f32_e32 v29, v52, v58
	v_mul_f32_e32 v38, v26, v38
	v_fma_f32 v14, v45, v31, -v32
	v_fma_f32 v12, v47, v33, -v34
	;; [unrolled: 1-line block ×3, first 2 shown]
	v_dual_sub_f32 v31, v56, v54 :: v_dual_add_f32 v26, v11, v60
	v_add_f32_e32 v17, v62, v67
	v_sub_f32_e32 v11, v11, v60
	v_fma_f32 v8, v8, v37, -v38
	v_dual_add_f32 v10, v52, v58 :: v_dual_sub_f32 v33, v62, v67
	v_add_f32_e32 v19, v54, v56
	s_delay_alu instid0(VALU_DEP_3)
	v_dual_sub_f32 v35, v63, v66 :: v_dual_add_f32 v32, v18, v8
	v_add_f32_e32 v34, v16, v9
	v_dual_sub_f32 v9, v16, v9 :: v_dual_add_f32 v36, v14, v12
	v_add_f32_e32 v43, v15, v13
	v_sub_f32_e32 v37, v65, v64
	v_dual_sub_f32 v8, v18, v8 :: v_dual_sub_f32 v41, v28, v27
	v_add_f32_e32 v18, v63, v66
	v_dual_sub_f32 v12, v12, v14 :: v_dual_sub_f32 v45, v15, v13
	v_add_f32_e32 v14, v10, v26
	v_dual_add_f32 v38, v28, v27 :: v_dual_sub_f32 v13, v13, v5
	v_dual_add_f32 v16, v64, v65 :: v_dual_sub_f32 v27, v27, v30
	s_delay_alu instid0(VALU_DEP_4)
	v_dual_sub_f32 v28, v30, v28 :: v_dual_sub_f32 v53, v12, v9
	v_dual_add_f32 v42, v31, v29 :: v_dual_sub_f32 v49, v34, v32
	v_sub_f32_e32 v44, v31, v29
	v_dual_sub_f32 v31, v11, v31 :: v_dual_sub_f32 v40, v10, v26
	v_dual_sub_f32 v26, v26, v19 :: v_dual_add_f32 v51, v12, v9
	v_dual_sub_f32 v10, v19, v10 :: v_dual_add_f32 v47, v34, v32
	v_sub_f32_e32 v15, v5, v15
	v_dual_sub_f32 v29, v29, v11 :: v_dual_add_f32 v46, v18, v17
	v_mul_f32_e32 v27, 0x3f4a47b2, v27
	v_add_f32_e32 v50, v37, v35
	v_dual_sub_f32 v52, v37, v35 :: v_dual_add_f32 v5, v43, v5
	v_dual_sub_f32 v12, v8, v12 :: v_dual_mul_f32 v43, 0x3f08b237, v45
	v_dual_add_f32 v14, v19, v14 :: v_dual_mul_f32 v45, 0xbf5ff5aa, v13
	v_add_f32_e32 v19, v30, v38
	v_dual_sub_f32 v34, v36, v34 :: v_dual_add_f32 v11, v42, v11
	v_dual_sub_f32 v48, v18, v17 :: v_dual_sub_f32 v17, v17, v16
	v_dual_sub_f32 v18, v16, v18 :: v_dual_sub_f32 v35, v35, v33
	v_mul_f32_e32 v26, 0x3f4a47b2, v26
	v_dual_mul_f32 v38, 0x3d64c772, v28 :: v_dual_add_f32 v7, v7, v14
	s_delay_alu instid0(VALU_DEP_4)
	v_dual_add_f32 v16, v16, v46 :: v_dual_mul_f32 v17, 0x3f4a47b2, v17
	v_fma_f32 v13, 0xbf5ff5aa, v13, -v43
	v_add_f32_e32 v54, v6, v19
	v_dual_sub_f32 v32, v32, v36 :: v_dual_sub_f32 v37, v33, v37
	v_sub_f32_e32 v9, v9, v8
	v_add_f32_e32 v33, v50, v33
	v_fmamk_f32 v6, v10, 0x3d64c772, v26
	v_dual_fmac_f32 v13, 0xbee1c552, v5 :: v_dual_add_f32 v4, v4, v16
	v_dual_fmamk_f32 v19, v19, 0xbf955555, v54 :: v_dual_fmamk_f32 v14, v14, 0xbf955555, v7
	v_mul_f32_e32 v42, 0x3f08b237, v44
	v_add_f32_e32 v36, v36, v47
	v_fma_f32 v26, 0xbf3bfb3b, v40, -v26
	v_mul_f32_e32 v47, 0x3d64c772, v34
	v_add_f32_e32 v6, v6, v14
	v_mul_f32_e32 v50, 0x3f08b237, v52
	v_dual_add_f32 v8, v51, v8 :: v_dual_mul_f32 v51, 0x3f08b237, v53
	v_mul_f32_e32 v53, 0xbf5ff5aa, v9
	v_dual_mul_f32 v30, 0x3d64c772, v10 :: v_dual_add_f32 v39, v39, v36
	v_fmamk_f32 v10, v28, 0x3d64c772, v27
	v_fma_f32 v27, 0xbf3bfb3b, v41, -v27
	v_mul_f32_e32 v44, 0xbf5ff5aa, v29
	s_delay_alu instid0(VALU_DEP_4)
	v_fma_f32 v28, 0x3f3bfb3b, v40, -v30
	v_fma_f32 v30, 0x3f3bfb3b, v41, -v38
	v_fmamk_f32 v40, v15, 0xbeae86e6, v43
	v_fma_f32 v29, 0xbf5ff5aa, v29, -v42
	v_fma_f32 v15, 0x3eae86e6, v15, -v45
	v_fma_f32 v9, 0xbf5ff5aa, v9, -v51
	v_fmamk_f32 v43, v37, 0xbeae86e6, v50
	s_delay_alu instid0(VALU_DEP_4) | instskip(NEXT) | instid1(VALU_DEP_4)
	v_dual_fmac_f32 v40, 0xbee1c552, v5 :: v_dual_fmac_f32 v29, 0xbee1c552, v11
	v_fmac_f32_e32 v15, 0xbee1c552, v5
	v_fmamk_f32 v5, v16, 0xbf955555, v4
	v_mul_f32_e32 v46, 0x3d64c772, v18
	v_dual_fmac_f32 v9, 0xbee1c552, v8 :: v_dual_add_f32 v16, v30, v19
	v_fmamk_f32 v38, v31, 0xbeae86e6, v42
	v_fma_f32 v31, 0x3eae86e6, v31, -v44
	v_fmamk_f32 v44, v12, 0xbeae86e6, v51
	v_fma_f32 v12, 0x3eae86e6, v12, -v53
	v_fma_f32 v41, 0x3f3bfb3b, v48, -v46
	v_mul_f32_e32 v32, 0x3f4a47b2, v32
	v_dual_fmac_f32 v38, 0xbee1c552, v11 :: v_dual_fmac_f32 v43, 0xbee1c552, v33
	v_dual_fmac_f32 v31, 0xbee1c552, v11 :: v_dual_fmac_f32 v44, 0xbee1c552, v8
	v_fmamk_f32 v11, v36, 0xbf955555, v39
	v_fmac_f32_e32 v12, 0xbee1c552, v8
	v_add_f32_e32 v8, v10, v19
	v_add_f32_e32 v10, v28, v14
	;; [unrolled: 1-line block ×3, first 2 shown]
	v_mul_f32_e32 v52, 0xbf5ff5aa, v35
	v_dual_add_f32 v19, v27, v19 :: v_dual_fmamk_f32 v18, v18, 0x3d64c772, v17
	v_fma_f32 v17, 0xbf3bfb3b, v48, -v17
	v_fma_f32 v42, 0x3f3bfb3b, v49, -v47
	v_dual_add_f32 v27, v41, v5 :: v_dual_fmamk_f32 v34, v34, 0x3d64c772, v32
	v_fma_f32 v32, 0xbf3bfb3b, v49, -v32
	v_add_f32_e32 v18, v18, v5
	v_add_f32_e32 v5, v17, v5
	;; [unrolled: 1-line block ×3, first 2 shown]
	v_fma_f32 v37, 0x3eae86e6, v37, -v52
	v_add_f32_e32 v26, v34, v11
	v_add_f32_e32 v28, v42, v11
	;; [unrolled: 1-line block ×3, first 2 shown]
	v_sub_f32_e32 v34, v10, v13
	v_dual_fmac_f32 v37, 0xbee1c552, v33 :: v_dual_add_f32 v10, v13, v10
	v_dual_sub_f32 v13, v14, v15 :: v_dual_add_f32 v14, v12, v5
	v_sub_f32_e32 v5, v5, v12
	v_add_f32_e32 v11, v40, v6
	v_fma_f32 v35, 0xbf5ff5aa, v35, -v50
	v_sub_f32_e32 v6, v6, v40
	v_dual_sub_f32 v32, v8, v38 :: v_dual_sub_f32 v15, v27, v9
	v_add_f32_e32 v9, v9, v27
	s_delay_alu instid0(VALU_DEP_4)
	v_fmac_f32_e32 v35, 0xbee1c552, v33
	v_sub_f32_e32 v33, v19, v31
	v_add_f32_e32 v19, v31, v19
	v_dual_add_f32 v31, v38, v8 :: v_dual_add_f32 v8, v44, v18
	v_sub_f32_e32 v12, v18, v44
	v_dual_add_f32 v36, v29, v16 :: v_dual_sub_f32 v27, v30, v37
	v_sub_f32_e32 v29, v16, v29
	ds_store_2addr_b32 v20, v7, v11 offset1:39
	ds_store_2addr_b32 v20, v17, v34 offset0:78 offset1:117
	ds_store_2addr_b32 v20, v10, v13 offset0:156 offset1:195
	;; [unrolled: 1-line block ×6, first 2 shown]
	s_waitcnt lgkmcnt(0)
	s_barrier
	buffer_gl0_inv
	ds_load_2addr_b32 v[10:11], v1 offset0:17 offset1:56
	ds_load_2addr_b32 v[4:5], v20 offset0:39 offset1:78
	;; [unrolled: 1-line block ×6, first 2 shown]
	ds_load_b32 v16, v68
	ds_load_b32 v17, v20 offset:2028
	v_sub_f32_e32 v18, v26, v43
	v_add_f32_e32 v34, v35, v28
	v_sub_f32_e32 v28, v28, v35
	v_add_f32_e32 v30, v37, v30
	v_add_f32_e32 v26, v43, v26
	s_waitcnt lgkmcnt(0)
	s_barrier
	buffer_gl0_inv
	ds_store_2addr_b32 v20, v54, v32 offset1:39
	ds_store_2addr_b32 v20, v33, v36 offset0:78 offset1:117
	ds_store_2addr_b32 v20, v29, v19 offset0:156 offset1:195
	;; [unrolled: 1-line block ×6, first 2 shown]
	s_waitcnt lgkmcnt(0)
	s_barrier
	buffer_gl0_inv
	s_and_saveexec_b32 s0, vcc_lo
	s_cbranch_execz .LBB0_26
; %bb.25:
	v_dual_mov_b32 v1, 0 :: v_dual_add_nc_u32 v72, 0x111, v0
	v_mad_u64_u32 v[43:44], null, s8, v0, 0
	v_mad_u64_u32 v[45:46], null, s8, v23, 0
	s_delay_alu instid0(VALU_DEP_3) | instskip(SKIP_3) | instid1(VALU_DEP_4)
	v_lshlrev_b64 v[18:19], 3, v[0:1]
	v_add_nc_u32_e32 v74, 0x15f, v0
	v_mad_u64_u32 v[49:50], null, s8, v24, 0
	v_mad_u64_u32 v[57:58], null, s8, v72, 0
	v_add_co_u32 v18, vcc_lo, s4, v18
	v_add_co_ci_u32_e32 v19, vcc_lo, s5, v19, vcc_lo
	v_add_co_u32 v78, vcc_lo, s10, v2
	s_clause 0x6
	global_load_b64 v[25:26], v[18:19], off offset:3952
	global_load_b64 v[27:28], v[18:19], off offset:3640
	;; [unrolled: 1-line block ×7, first 2 shown]
	v_mad_u64_u32 v[47:48], null, s8, v22, 0
	v_add_co_ci_u32_e32 v79, vcc_lo, s11, v3, vcc_lo
	v_mov_b32_e32 v3, v44
	v_add_nc_u32_e32 v75, 0x186, v0
	v_add_nc_u32_e32 v81, 0xc3, v0
	v_mad_u64_u32 v[1:2], null, s8, v21, 0
	v_dual_mov_b32 v44, v48 :: v_dual_add_nc_u32 v73, 0x138, v0
	v_mad_u64_u32 v[61:62], null, s8, v74, 0
	ds_load_2addr_b32 v[37:38], v20 offset0:195 offset1:234
	v_add_nc_u32_e32 v55, 0x400, v20
	ds_load_2addr_b32 v[39:40], v20 offset0:117 offset1:156
	ds_load_2addr_b32 v[41:42], v20 offset0:39 offset1:78
	ds_load_b32 v76, v20 offset:2028
	ds_load_b32 v77, v68
	v_mov_b32_e32 v20, v46
	v_add_nc_u32_e32 v80, 0x1ad, v0
	v_mov_b32_e32 v46, v50
	v_mad_u64_u32 v[63:64], null, s8, v75, 0
	v_add_nc_u32_e32 v82, 0xea, v0
	v_mad_u64_u32 v[67:68], null, s9, v0, v[3:4]
	v_mov_b32_e32 v0, v58
	v_mul_hi_u32 v83, 0xe01e01e1, v81
	v_mad_u64_u32 v[59:60], null, s8, v73, 0
	v_mad_u64_u32 v[68:69], null, s9, v21, v[2:3]
	v_mov_b32_e32 v3, v62
	v_mad_u64_u32 v[65:66], null, s8, v80, 0
	v_mad_u64_u32 v[69:70], null, s9, v23, v[20:21]
	;; [unrolled: 1-line block ×3, first 2 shown]
	v_mov_b32_e32 v21, v64
	v_mad_u64_u32 v[22:23], null, s9, v24, v[46:47]
	v_sub_nc_u32_e32 v24, v81, v83
	v_mul_hi_u32 v84, 0xe01e01e1, v82
	v_dual_mov_b32 v2, v60 :: v_dual_mov_b32 v23, v66
	v_mad_u64_u32 v[70:71], null, s9, v72, v[0:1]
	s_delay_alu instid0(VALU_DEP_4) | instskip(NEXT) | instid1(VALU_DEP_3)
	v_lshrrev_b32_e32 v0, 1, v24
	v_mad_u64_u32 v[71:72], null, s9, v73, v[2:3]
	v_mad_u64_u32 v[72:73], null, s9, v74, v[3:4]
	;; [unrolled: 1-line block ×3, first 2 shown]
	v_sub_nc_u32_e32 v44, v82, v84
	v_mad_u64_u32 v[74:75], null, s9, v80, v[23:24]
	v_add_nc_u32_e32 v24, v0, v83
	v_mov_b32_e32 v60, v71
	s_delay_alu instid0(VALU_DEP_4)
	v_lshrrev_b32_e32 v3, 1, v44
	v_mov_b32_e32 v2, v68
	v_mov_b32_e32 v50, v22
	v_lshrrev_b32_e32 v24, 8, v24
	v_mov_b32_e32 v62, v72
	ds_load_2addr_b32 v[51:52], v55 offset0:173 offset1:212
	ds_load_2addr_b32 v[53:54], v55 offset0:95 offset1:134
	;; [unrolled: 1-line block ×3, first 2 shown]
	v_mov_b32_e32 v46, v69
	v_mov_b32_e32 v58, v70
	v_mad_u32_u24 v71, 0x111, v24, v81
	v_mov_b32_e32 v44, v67
	v_dual_mov_b32 v64, v73 :: v_dual_add_nc_u32 v67, v3, v84
	v_mov_b32_e32 v48, v20
	s_delay_alu instid0(VALU_DEP_4) | instskip(NEXT) | instid1(VALU_DEP_3)
	v_dual_mov_b32 v66, v74 :: v_dual_add_nc_u32 v73, 0x111, v71
	v_lshrrev_b32_e32 v67, 8, v67
	v_lshlrev_b64 v[20:21], 3, v[43:44]
	v_lshlrev_b64 v[43:44], 3, v[49:50]
	;; [unrolled: 1-line block ×3, first 2 shown]
	v_mad_u64_u32 v[61:62], null, s8, v71, 0
	v_mad_u32_u24 v72, 0x111, v67, v82
	v_lshlrev_b64 v[0:1], 3, v[1:2]
	v_lshlrev_b64 v[2:3], 3, v[45:46]
	;; [unrolled: 1-line block ×4, first 2 shown]
	v_add_nc_u32_e32 v74, 0x111, v72
	v_mad_u64_u32 v[63:64], null, s8, v72, 0
	v_lshlrev_b64 v[22:23], 3, v[47:48]
	v_lshlrev_b64 v[47:48], 3, v[59:60]
	;; [unrolled: 1-line block ×3, first 2 shown]
	v_mad_u64_u32 v[65:66], null, s8, v73, 0
	v_add_co_u32 v20, vcc_lo, v78, v20
	v_mad_u64_u32 v[67:68], null, s8, v74, 0
	v_add_co_ci_u32_e32 v21, vcc_lo, v79, v21, vcc_lo
	v_mov_b32_e32 v24, v62
	v_add_co_u32 v0, vcc_lo, v78, v0
	v_add_co_ci_u32_e32 v1, vcc_lo, v79, v1, vcc_lo
	v_add_co_u32 v2, vcc_lo, v78, v2
	v_mov_b32_e32 v62, v64
	v_add_co_ci_u32_e32 v3, vcc_lo, v79, v3, vcc_lo
	v_mov_b32_e32 v64, v68
	v_add_co_u32 v22, vcc_lo, v78, v22
	v_add_co_ci_u32_e32 v23, vcc_lo, v79, v23, vcc_lo
	v_add_co_u32 v43, vcc_lo, v78, v43
	v_add_co_ci_u32_e32 v44, vcc_lo, v79, v44, vcc_lo
	;; [unrolled: 2-line block ×7, first 2 shown]
	s_waitcnt vmcnt(6)
	v_mad_u64_u32 v[69:70], null, s9, v71, v[24:25]
	v_mov_b32_e32 v24, v66
	v_mad_u64_u32 v[70:71], null, s9, v72, v[62:63]
	s_delay_alu instid0(VALU_DEP_2) | instskip(SKIP_2) | instid1(VALU_DEP_4)
	v_mad_u64_u32 v[71:72], null, s9, v73, v[24:25]
	v_mad_u64_u32 v[72:73], null, s9, v74, v[64:65]
	v_mov_b32_e32 v62, v69
	v_mov_b32_e32 v64, v70
	v_mul_f32_e32 v24, v17, v26
	s_waitcnt lgkmcnt(4)
	v_mul_f32_e32 v26, v76, v26
	v_mov_b32_e32 v66, v71
	s_waitcnt vmcnt(5)
	v_dual_mul_f32 v69, v15, v28 :: v_dual_mov_b32 v68, v72
	s_waitcnt lgkmcnt(2)
	v_mul_f32_e32 v28, v52, v28
	s_waitcnt vmcnt(4)
	v_mul_f32_e32 v70, v14, v30
	s_waitcnt vmcnt(3)
	v_dual_mul_f32 v30, v51, v30 :: v_dual_mul_f32 v71, v13, v32
	s_waitcnt lgkmcnt(1)
	v_mul_f32_e32 v32, v54, v32
	s_waitcnt vmcnt(1)
	v_dual_mul_f32 v72, v12, v34 :: v_dual_mul_f32 v73, v11, v36
	s_waitcnt vmcnt(0)
	v_mul_f32_e32 v74, v10, v19
	s_waitcnt lgkmcnt(0)
	v_dual_mul_f32 v19, v55, v19 :: v_dual_mul_f32 v36, v56, v36
	v_lshlrev_b64 v[61:62], 3, v[61:62]
	v_mul_f32_e32 v34, v53, v34
	v_fma_f32 v24, v76, v25, -v24
	v_fmac_f32_e32 v26, v17, v25
	v_fma_f32 v17, v52, v27, -v69
	v_fmac_f32_e32 v28, v15, v27
	;; [unrolled: 2-line block ×4, first 2 shown]
	v_fma_f32 v27, v53, v33, -v72
	v_fma_f32 v29, v56, v35, -v73
	;; [unrolled: 1-line block ×3, first 2 shown]
	v_fmac_f32_e32 v19, v10, v18
	v_lshlrev_b64 v[63:64], 3, v[63:64]
	v_fmac_f32_e32 v36, v11, v35
	v_lshlrev_b64 v[65:66], 3, v[65:66]
	v_add_co_u32 v61, vcc_lo, v78, v61
	v_fmac_f32_e32 v34, v12, v33
	v_sub_f32_e32 v12, v8, v28
	v_dual_sub_f32 v18, v39, v25 :: v_dual_sub_f32 v25, v42, v27
	v_sub_f32_e32 v27, v41, v29
	v_sub_f32_e32 v29, v77, v31
	;; [unrolled: 1-line block ×3, first 2 shown]
	v_add_co_ci_u32_e32 v62, vcc_lo, v79, v62, vcc_lo
	v_lshlrev_b64 v[67:68], 3, v[67:68]
	v_add_co_u32 v63, vcc_lo, v78, v63
	v_sub_f32_e32 v10, v9, v26
	v_sub_f32_e32 v13, v37, v17
	;; [unrolled: 1-line block ×4, first 2 shown]
	v_add_co_ci_u32_e32 v64, vcc_lo, v79, v64, vcc_lo
	v_dual_sub_f32 v11, v38, v24 :: v_dual_sub_f32 v14, v7, v30
	v_sub_f32_e32 v24, v5, v34
	v_add_co_u32 v65, vcc_lo, v78, v65
	v_sub_f32_e32 v15, v40, v15
	v_fma_f32 v35, v77, 2.0, -v29
	v_fma_f32 v34, v16, 2.0, -v28
	v_add_co_ci_u32_e32 v66, vcc_lo, v79, v66, vcc_lo
	v_fma_f32 v30, v9, 2.0, -v10
	v_fma_f32 v9, v37, 2.0, -v13
	;; [unrolled: 1-line block ×4, first 2 shown]
	v_add_co_u32 v67, vcc_lo, v78, v67
	v_fma_f32 v31, v38, 2.0, -v11
	v_fma_f32 v32, v7, 2.0, -v14
	;; [unrolled: 1-line block ×5, first 2 shown]
	v_add_co_ci_u32_e32 v68, vcc_lo, v79, v68, vcc_lo
	v_fma_f32 v8, v8, 2.0, -v12
	v_fma_f32 v33, v40, 2.0, -v15
	;; [unrolled: 1-line block ×3, first 2 shown]
	s_clause 0xd
	global_store_b64 v[20:21], v[34:35], off
	global_store_b64 v[45:46], v[28:29], off
	;; [unrolled: 1-line block ×14, first 2 shown]
.LBB0_26:
	s_nop 0
	s_sendmsg sendmsg(MSG_DEALLOC_VGPRS)
	s_endpgm
	.section	.rodata,"a",@progbits
	.p2align	6, 0x0
	.amdhsa_kernel fft_rtc_back_len546_factors_13_3_7_2_wgs_117_tpt_39_halfLds_sp_ip_CI_sbrr_dirReg
		.amdhsa_group_segment_fixed_size 0
		.amdhsa_private_segment_fixed_size 0
		.amdhsa_kernarg_size 88
		.amdhsa_user_sgpr_count 15
		.amdhsa_user_sgpr_dispatch_ptr 0
		.amdhsa_user_sgpr_queue_ptr 0
		.amdhsa_user_sgpr_kernarg_segment_ptr 1
		.amdhsa_user_sgpr_dispatch_id 0
		.amdhsa_user_sgpr_private_segment_size 0
		.amdhsa_wavefront_size32 1
		.amdhsa_uses_dynamic_stack 0
		.amdhsa_enable_private_segment 0
		.amdhsa_system_sgpr_workgroup_id_x 1
		.amdhsa_system_sgpr_workgroup_id_y 0
		.amdhsa_system_sgpr_workgroup_id_z 0
		.amdhsa_system_sgpr_workgroup_info 0
		.amdhsa_system_vgpr_workitem_id 0
		.amdhsa_next_free_vgpr 96
		.amdhsa_next_free_sgpr 23
		.amdhsa_reserve_vcc 1
		.amdhsa_float_round_mode_32 0
		.amdhsa_float_round_mode_16_64 0
		.amdhsa_float_denorm_mode_32 3
		.amdhsa_float_denorm_mode_16_64 3
		.amdhsa_dx10_clamp 1
		.amdhsa_ieee_mode 1
		.amdhsa_fp16_overflow 0
		.amdhsa_workgroup_processor_mode 1
		.amdhsa_memory_ordered 1
		.amdhsa_forward_progress 0
		.amdhsa_shared_vgpr_count 0
		.amdhsa_exception_fp_ieee_invalid_op 0
		.amdhsa_exception_fp_denorm_src 0
		.amdhsa_exception_fp_ieee_div_zero 0
		.amdhsa_exception_fp_ieee_overflow 0
		.amdhsa_exception_fp_ieee_underflow 0
		.amdhsa_exception_fp_ieee_inexact 0
		.amdhsa_exception_int_div_zero 0
	.end_amdhsa_kernel
	.text
.Lfunc_end0:
	.size	fft_rtc_back_len546_factors_13_3_7_2_wgs_117_tpt_39_halfLds_sp_ip_CI_sbrr_dirReg, .Lfunc_end0-fft_rtc_back_len546_factors_13_3_7_2_wgs_117_tpt_39_halfLds_sp_ip_CI_sbrr_dirReg
                                        ; -- End function
	.section	.AMDGPU.csdata,"",@progbits
; Kernel info:
; codeLenInByte = 14400
; NumSgprs: 25
; NumVgprs: 96
; ScratchSize: 0
; MemoryBound: 0
; FloatMode: 240
; IeeeMode: 1
; LDSByteSize: 0 bytes/workgroup (compile time only)
; SGPRBlocks: 3
; VGPRBlocks: 11
; NumSGPRsForWavesPerEU: 25
; NumVGPRsForWavesPerEU: 96
; Occupancy: 16
; WaveLimiterHint : 1
; COMPUTE_PGM_RSRC2:SCRATCH_EN: 0
; COMPUTE_PGM_RSRC2:USER_SGPR: 15
; COMPUTE_PGM_RSRC2:TRAP_HANDLER: 0
; COMPUTE_PGM_RSRC2:TGID_X_EN: 1
; COMPUTE_PGM_RSRC2:TGID_Y_EN: 0
; COMPUTE_PGM_RSRC2:TGID_Z_EN: 0
; COMPUTE_PGM_RSRC2:TIDIG_COMP_CNT: 0
	.text
	.p2alignl 7, 3214868480
	.fill 96, 4, 3214868480
	.type	__hip_cuid_aff4818e72993d86,@object ; @__hip_cuid_aff4818e72993d86
	.section	.bss,"aw",@nobits
	.globl	__hip_cuid_aff4818e72993d86
__hip_cuid_aff4818e72993d86:
	.byte	0                               ; 0x0
	.size	__hip_cuid_aff4818e72993d86, 1

	.ident	"AMD clang version 19.0.0git (https://github.com/RadeonOpenCompute/llvm-project roc-6.4.0 25133 c7fe45cf4b819c5991fe208aaa96edf142730f1d)"
	.section	".note.GNU-stack","",@progbits
	.addrsig
	.addrsig_sym __hip_cuid_aff4818e72993d86
	.amdgpu_metadata
---
amdhsa.kernels:
  - .args:
      - .actual_access:  read_only
        .address_space:  global
        .offset:         0
        .size:           8
        .value_kind:     global_buffer
      - .offset:         8
        .size:           8
        .value_kind:     by_value
      - .actual_access:  read_only
        .address_space:  global
        .offset:         16
        .size:           8
        .value_kind:     global_buffer
      - .actual_access:  read_only
        .address_space:  global
        .offset:         24
        .size:           8
        .value_kind:     global_buffer
      - .offset:         32
        .size:           8
        .value_kind:     by_value
      - .actual_access:  read_only
        .address_space:  global
        .offset:         40
        .size:           8
        .value_kind:     global_buffer
      - .actual_access:  read_only
        .address_space:  global
        .offset:         48
        .size:           8
        .value_kind:     global_buffer
      - .offset:         56
        .size:           4
        .value_kind:     by_value
      - .actual_access:  read_only
        .address_space:  global
        .offset:         64
        .size:           8
        .value_kind:     global_buffer
      - .actual_access:  read_only
        .address_space:  global
        .offset:         72
        .size:           8
        .value_kind:     global_buffer
      - .address_space:  global
        .offset:         80
        .size:           8
        .value_kind:     global_buffer
    .group_segment_fixed_size: 0
    .kernarg_segment_align: 8
    .kernarg_segment_size: 88
    .language:       OpenCL C
    .language_version:
      - 2
      - 0
    .max_flat_workgroup_size: 117
    .name:           fft_rtc_back_len546_factors_13_3_7_2_wgs_117_tpt_39_halfLds_sp_ip_CI_sbrr_dirReg
    .private_segment_fixed_size: 0
    .sgpr_count:     25
    .sgpr_spill_count: 0
    .symbol:         fft_rtc_back_len546_factors_13_3_7_2_wgs_117_tpt_39_halfLds_sp_ip_CI_sbrr_dirReg.kd
    .uniform_work_group_size: 1
    .uses_dynamic_stack: false
    .vgpr_count:     96
    .vgpr_spill_count: 0
    .wavefront_size: 32
    .workgroup_processor_mode: 1
amdhsa.target:   amdgcn-amd-amdhsa--gfx1100
amdhsa.version:
  - 1
  - 2
...

	.end_amdgpu_metadata
